;; amdgpu-corpus repo=ROCm/rocFFT kind=compiled arch=gfx950 opt=O3
	.text
	.amdgcn_target "amdgcn-amd-amdhsa--gfx950"
	.amdhsa_code_object_version 6
	.protected	fft_rtc_back_len1496_factors_17_8_11_wgs_187_tpt_187_halfLds_dp_op_CI_CI_unitstride_sbrr_R2C_dirReg ; -- Begin function fft_rtc_back_len1496_factors_17_8_11_wgs_187_tpt_187_halfLds_dp_op_CI_CI_unitstride_sbrr_R2C_dirReg
	.globl	fft_rtc_back_len1496_factors_17_8_11_wgs_187_tpt_187_halfLds_dp_op_CI_CI_unitstride_sbrr_R2C_dirReg
	.p2align	8
	.type	fft_rtc_back_len1496_factors_17_8_11_wgs_187_tpt_187_halfLds_dp_op_CI_CI_unitstride_sbrr_R2C_dirReg,@function
fft_rtc_back_len1496_factors_17_8_11_wgs_187_tpt_187_halfLds_dp_op_CI_CI_unitstride_sbrr_R2C_dirReg: ; @fft_rtc_back_len1496_factors_17_8_11_wgs_187_tpt_187_halfLds_dp_op_CI_CI_unitstride_sbrr_R2C_dirReg
; %bb.0:
	s_load_dwordx4 s[4:7], s[0:1], 0x58
	s_load_dwordx4 s[8:11], s[0:1], 0x0
	;; [unrolled: 1-line block ×3, first 2 shown]
	v_mul_u32_u24_e32 v1, 0x15f, v0
	v_add_u32_sdwa v6, s2, v1 dst_sel:DWORD dst_unused:UNUSED_PAD src0_sel:DWORD src1_sel:WORD_1
	v_mov_b32_e32 v4, 0
	s_waitcnt lgkmcnt(0)
	v_cmp_lt_u64_e64 s[2:3], s[10:11], 2
	v_mov_b32_e32 v7, v4
	s_and_b64 vcc, exec, s[2:3]
	v_mov_b64_e32 v[2:3], 0
	s_cbranch_vccnz .LBB0_8
; %bb.1:
	s_load_dwordx2 s[2:3], s[0:1], 0x10
	s_add_u32 s16, s14, 8
	s_addc_u32 s17, s15, 0
	s_add_u32 s18, s12, 8
	s_addc_u32 s19, s13, 0
	s_waitcnt lgkmcnt(0)
	s_add_u32 s20, s2, 8
	v_mov_b64_e32 v[2:3], 0
	s_addc_u32 s21, s3, 0
	s_mov_b64 s[22:23], 1
	v_mov_b64_e32 v[120:121], v[2:3]
.LBB0_2:                                ; =>This Inner Loop Header: Depth=1
	s_load_dwordx2 s[24:25], s[20:21], 0x0
                                        ; implicit-def: $vgpr122_vgpr123
	s_waitcnt lgkmcnt(0)
	v_or_b32_e32 v5, s25, v7
	v_cmp_ne_u64_e32 vcc, 0, v[4:5]
	s_and_saveexec_b64 s[2:3], vcc
	s_xor_b64 s[26:27], exec, s[2:3]
	s_cbranch_execz .LBB0_4
; %bb.3:                                ;   in Loop: Header=BB0_2 Depth=1
	v_cvt_f32_u32_e32 v1, s24
	v_cvt_f32_u32_e32 v5, s25
	s_sub_u32 s2, 0, s24
	s_subb_u32 s3, 0, s25
	v_fmac_f32_e32 v1, 0x4f800000, v5
	v_rcp_f32_e32 v1, v1
	s_nop 0
	v_mul_f32_e32 v1, 0x5f7ffffc, v1
	v_mul_f32_e32 v5, 0x2f800000, v1
	v_trunc_f32_e32 v5, v5
	v_fmac_f32_e32 v1, 0xcf800000, v5
	v_cvt_u32_f32_e32 v5, v5
	v_cvt_u32_f32_e32 v1, v1
	v_mul_lo_u32 v8, s2, v5
	v_mul_hi_u32 v10, s2, v1
	v_mul_lo_u32 v9, s3, v1
	v_add_u32_e32 v10, v10, v8
	v_mul_lo_u32 v12, s2, v1
	v_add_u32_e32 v13, v10, v9
	v_mul_hi_u32 v8, v1, v12
	v_mul_hi_u32 v11, v1, v13
	v_mul_lo_u32 v10, v1, v13
	v_mov_b32_e32 v9, v4
	v_lshl_add_u64 v[8:9], v[8:9], 0, v[10:11]
	v_mul_hi_u32 v11, v5, v12
	v_mul_lo_u32 v12, v5, v12
	v_add_co_u32_e32 v8, vcc, v8, v12
	v_mul_hi_u32 v10, v5, v13
	s_nop 0
	v_addc_co_u32_e32 v8, vcc, v9, v11, vcc
	v_mov_b32_e32 v9, v4
	s_nop 0
	v_addc_co_u32_e32 v11, vcc, 0, v10, vcc
	v_mul_lo_u32 v10, v5, v13
	v_lshl_add_u64 v[8:9], v[8:9], 0, v[10:11]
	v_add_co_u32_e32 v1, vcc, v1, v8
	v_mul_lo_u32 v10, s2, v1
	s_nop 0
	v_addc_co_u32_e32 v5, vcc, v5, v9, vcc
	v_mul_lo_u32 v8, s2, v5
	v_mul_hi_u32 v9, s2, v1
	v_add_u32_e32 v8, v9, v8
	v_mul_lo_u32 v9, s3, v1
	v_add_u32_e32 v12, v8, v9
	v_mul_hi_u32 v14, v5, v10
	v_mul_lo_u32 v15, v5, v10
	v_mul_hi_u32 v9, v1, v12
	v_mul_lo_u32 v8, v1, v12
	v_mul_hi_u32 v10, v1, v10
	v_mov_b32_e32 v11, v4
	v_lshl_add_u64 v[8:9], v[10:11], 0, v[8:9]
	v_add_co_u32_e32 v8, vcc, v8, v15
	v_mul_hi_u32 v13, v5, v12
	s_nop 0
	v_addc_co_u32_e32 v8, vcc, v9, v14, vcc
	v_mul_lo_u32 v10, v5, v12
	s_nop 0
	v_addc_co_u32_e32 v11, vcc, 0, v13, vcc
	v_mov_b32_e32 v9, v4
	v_lshl_add_u64 v[8:9], v[8:9], 0, v[10:11]
	v_add_co_u32_e32 v1, vcc, v1, v8
	v_mul_hi_u32 v10, v6, v1
	s_nop 0
	v_addc_co_u32_e32 v5, vcc, v5, v9, vcc
	v_mad_u64_u32 v[8:9], s[2:3], v6, v5, 0
	v_mov_b32_e32 v11, v4
	v_lshl_add_u64 v[8:9], v[10:11], 0, v[8:9]
	v_mad_u64_u32 v[12:13], s[2:3], v7, v1, 0
	v_add_co_u32_e32 v1, vcc, v8, v12
	v_mad_u64_u32 v[10:11], s[2:3], v7, v5, 0
	s_nop 0
	v_addc_co_u32_e32 v8, vcc, v9, v13, vcc
	v_mov_b32_e32 v9, v4
	s_nop 0
	v_addc_co_u32_e32 v11, vcc, 0, v11, vcc
	v_lshl_add_u64 v[8:9], v[8:9], 0, v[10:11]
	v_mul_lo_u32 v1, s25, v8
	v_mul_lo_u32 v5, s24, v9
	v_mad_u64_u32 v[10:11], s[2:3], s24, v8, 0
	v_add3_u32 v1, v11, v5, v1
	v_sub_u32_e32 v5, v7, v1
	v_mov_b32_e32 v11, s25
	v_sub_co_u32_e32 v14, vcc, v6, v10
	v_lshl_add_u64 v[12:13], v[8:9], 0, 1
	s_nop 0
	v_subb_co_u32_e64 v5, s[2:3], v5, v11, vcc
	v_subrev_co_u32_e64 v10, s[2:3], s24, v14
	v_subb_co_u32_e32 v1, vcc, v7, v1, vcc
	s_nop 0
	v_subbrev_co_u32_e64 v5, s[2:3], 0, v5, s[2:3]
	v_cmp_le_u32_e64 s[2:3], s25, v5
	v_cmp_le_u32_e32 vcc, s25, v1
	s_nop 0
	v_cndmask_b32_e64 v11, 0, -1, s[2:3]
	v_cmp_le_u32_e64 s[2:3], s24, v10
	s_nop 1
	v_cndmask_b32_e64 v10, 0, -1, s[2:3]
	v_cmp_eq_u32_e64 s[2:3], s25, v5
	s_nop 1
	v_cndmask_b32_e64 v5, v11, v10, s[2:3]
	v_lshl_add_u64 v[10:11], v[8:9], 0, 2
	v_cmp_ne_u32_e64 s[2:3], 0, v5
	s_nop 1
	v_cndmask_b32_e64 v5, v13, v11, s[2:3]
	v_cndmask_b32_e64 v11, 0, -1, vcc
	v_cmp_le_u32_e32 vcc, s24, v14
	s_nop 1
	v_cndmask_b32_e64 v13, 0, -1, vcc
	v_cmp_eq_u32_e32 vcc, s25, v1
	s_nop 1
	v_cndmask_b32_e32 v1, v11, v13, vcc
	v_cmp_ne_u32_e32 vcc, 0, v1
	v_cndmask_b32_e64 v1, v12, v10, s[2:3]
	s_nop 0
	v_cndmask_b32_e32 v123, v9, v5, vcc
	v_cndmask_b32_e32 v122, v8, v1, vcc
.LBB0_4:                                ;   in Loop: Header=BB0_2 Depth=1
	s_andn2_saveexec_b64 s[2:3], s[26:27]
	s_cbranch_execz .LBB0_6
; %bb.5:                                ;   in Loop: Header=BB0_2 Depth=1
	v_cvt_f32_u32_e32 v1, s24
	s_sub_i32 s26, 0, s24
	v_mov_b32_e32 v123, v4
	v_rcp_iflag_f32_e32 v1, v1
	s_nop 0
	v_mul_f32_e32 v1, 0x4f7ffffe, v1
	v_cvt_u32_f32_e32 v1, v1
	v_mul_lo_u32 v5, s26, v1
	v_mul_hi_u32 v5, v1, v5
	v_add_u32_e32 v1, v1, v5
	v_mul_hi_u32 v1, v6, v1
	v_mul_lo_u32 v5, v1, s24
	v_sub_u32_e32 v5, v6, v5
	v_add_u32_e32 v8, 1, v1
	v_subrev_u32_e32 v9, s24, v5
	v_cmp_le_u32_e32 vcc, s24, v5
	s_nop 1
	v_cndmask_b32_e32 v5, v5, v9, vcc
	v_cndmask_b32_e32 v1, v1, v8, vcc
	v_add_u32_e32 v8, 1, v1
	v_cmp_le_u32_e32 vcc, s24, v5
	s_nop 1
	v_cndmask_b32_e32 v122, v1, v8, vcc
.LBB0_6:                                ;   in Loop: Header=BB0_2 Depth=1
	s_or_b64 exec, exec, s[2:3]
	v_mad_u64_u32 v[8:9], s[2:3], v122, s24, 0
	s_load_dwordx2 s[2:3], s[18:19], 0x0
	v_mul_lo_u32 v1, v123, s24
	v_mul_lo_u32 v5, v122, s25
	s_load_dwordx2 s[24:25], s[16:17], 0x0
	s_add_u32 s22, s22, 1
	v_add3_u32 v1, v9, v5, v1
	v_sub_co_u32_e32 v5, vcc, v6, v8
	s_addc_u32 s23, s23, 0
	s_nop 0
	v_subb_co_u32_e32 v1, vcc, v7, v1, vcc
	s_add_u32 s16, s16, 8
	s_waitcnt lgkmcnt(0)
	v_mul_lo_u32 v6, s2, v1
	v_mul_lo_u32 v7, s3, v5
	v_mad_u64_u32 v[2:3], s[2:3], s2, v5, v[2:3]
	s_addc_u32 s17, s17, 0
	v_add3_u32 v3, v7, v3, v6
	v_mul_lo_u32 v1, s24, v1
	v_mul_lo_u32 v6, s25, v5
	v_mad_u64_u32 v[120:121], s[2:3], s24, v5, v[120:121]
	s_add_u32 s18, s18, 8
	v_add3_u32 v121, v6, v121, v1
	s_addc_u32 s19, s19, 0
	v_mov_b64_e32 v[6:7], s[10:11]
	s_add_u32 s20, s20, 8
	v_cmp_ge_u64_e32 vcc, s[22:23], v[6:7]
	s_addc_u32 s21, s21, 0
	s_cbranch_vccnz .LBB0_9
; %bb.7:                                ;   in Loop: Header=BB0_2 Depth=1
	v_mov_b64_e32 v[6:7], v[122:123]
	s_branch .LBB0_2
.LBB0_8:
	v_mov_b64_e32 v[120:121], v[2:3]
	v_mov_b64_e32 v[122:123], v[6:7]
.LBB0_9:
	s_load_dwordx2 s[18:19], s[0:1], 0x28
	s_lshl_b64 s[16:17], s[10:11], 3
	s_add_u32 s2, s14, s16
	s_addc_u32 s3, s15, s17
                                        ; implicit-def: $vgpr124
	s_waitcnt lgkmcnt(0)
	v_cmp_gt_u64_e64 s[0:1], s[18:19], v[122:123]
	v_cmp_le_u64_e32 vcc, s[18:19], v[122:123]
	s_and_saveexec_b64 s[10:11], vcc
	s_xor_b64 s[10:11], exec, s[10:11]
; %bb.10:
	s_mov_b32 s14, 0x15e75bc
	v_mul_hi_u32 v1, v0, s14
	v_mul_u32_u24_e32 v1, 0xbb, v1
	v_sub_u32_e32 v124, v0, v1
                                        ; implicit-def: $vgpr0
                                        ; implicit-def: $vgpr2_vgpr3
; %bb.11:
	s_andn2_saveexec_b64 s[10:11], s[10:11]
	s_cbranch_execz .LBB0_13
; %bb.12:
	s_add_u32 s12, s12, s16
	s_addc_u32 s13, s13, s17
	s_load_dwordx2 s[12:13], s[12:13], 0x0
	s_mov_b32 s14, 0x15e75bc
	v_mov_b32_e32 v33, 0
	s_waitcnt lgkmcnt(0)
	v_mul_lo_u32 v1, s13, v122
	v_mul_lo_u32 v6, s12, v123
	v_mad_u64_u32 v[4:5], s[12:13], s12, v122, 0
	v_add3_u32 v5, v5, v6, v1
	v_mul_hi_u32 v1, v0, s14
	v_mul_u32_u24_e32 v1, 0xbb, v1
	v_sub_u32_e32 v124, v0, v1
	v_lshl_add_u64 v[0:1], v[4:5], 4, s[4:5]
	v_lshl_add_u64 v[0:1], v[2:3], 4, v[0:1]
	v_lshlrev_b32_e32 v32, 4, v124
	v_lshl_add_u64 v[24:25], v[0:1], 0, v[32:33]
	s_movk_i32 s4, 0x1000
	v_add_co_u32_e32 v16, vcc, s4, v24
	s_movk_i32 s4, 0x2000
	s_nop 0
	v_addc_co_u32_e32 v17, vcc, 0, v25, vcc
	v_add_co_u32_e32 v26, vcc, s4, v24
	s_movk_i32 s4, 0x3000
	s_nop 0
	v_addc_co_u32_e32 v27, vcc, 0, v25, vcc
	v_add_co_u32_e32 v28, vcc, s4, v24
	global_load_dwordx4 v[0:3], v[24:25], off
	global_load_dwordx4 v[4:7], v[24:25], off offset:2992
	v_addc_co_u32_e32 v29, vcc, 0, v25, vcc
	v_add_co_u32_e32 v34, vcc, 0x4000, v24
	global_load_dwordx4 v[8:11], v[16:17], off offset:1888
	global_load_dwordx4 v[12:15], v[26:27], off offset:784
	v_addc_co_u32_e32 v35, vcc, 0, v25, vcc
	v_add_co_u32_e32 v36, vcc, 0x5000, v24
	global_load_dwordx4 v[16:19], v[26:27], off offset:3776
	global_load_dwordx4 v[20:23], v[28:29], off offset:2672
	v_addc_co_u32_e32 v37, vcc, 0, v25, vcc
	global_load_dwordx4 v[24:27], v[34:35], off offset:1568
	global_load_dwordx4 v[28:31], v[36:37], off offset:464
	v_add_u32_e32 v32, 0, v32
	s_waitcnt vmcnt(7)
	ds_write_b128 v32, v[0:3]
	s_waitcnt vmcnt(6)
	ds_write_b128 v32, v[4:7] offset:2992
	s_waitcnt vmcnt(5)
	ds_write_b128 v32, v[8:11] offset:5984
	;; [unrolled: 2-line block ×7, first 2 shown]
.LBB0_13:
	s_or_b64 exec, exec, s[10:11]
	v_lshl_add_u32 v190, v124, 4, 0
	s_waitcnt lgkmcnt(0)
	s_barrier
	ds_read_b128 v[12:15], v190 offset:22528
	ds_read_b128 v[16:19], v190 offset:1408
	ds_read_b128 v[20:23], v190
	ds_read_b128 v[24:27], v190 offset:2816
	ds_read_b128 v[28:31], v190 offset:4224
	;; [unrolled: 1-line block ×4, first 2 shown]
	s_mov_b32 s10, 0x4363dd80
	s_waitcnt lgkmcnt(5)
	v_add_f64 v[130:131], v[18:19], -v[14:15]
	s_mov_b32 s4, 0x910ea3b9
	s_mov_b32 s11, 0xbfe0d888
	;; [unrolled: 1-line block ×3, first 2 shown]
	ds_read_b128 v[40:43], v190 offset:18304
	ds_read_b128 v[44:47], v190 offset:5632
	v_add_f64 v[126:127], v[16:17], v[12:13]
	v_add_f64 v[128:129], v[18:19], v[14:15]
	s_mov_b32 s5, 0xbfeb34fa
	v_mul_f64 v[80:81], v[130:131], s[10:11]
	s_waitcnt lgkmcnt(3)
	v_add_f64 v[140:141], v[26:27], -v[34:35]
	s_mov_b32 s12, 0x2b2883cd
	s_mov_b32 s23, 0x3feca52d
	v_add_f64 v[134:135], v[16:17], -v[12:13]
	v_mul_f64 v[82:83], v[128:129], s[4:5]
	v_fma_f64 v[0:1], v[126:127], s[4:5], -v[80:81]
	v_add_f64 v[132:133], v[24:25], v[32:33]
	v_add_f64 v[136:137], v[26:27], v[34:35]
	s_mov_b32 s13, 0x3fdc86fa
	v_mul_f64 v[84:85], v[140:141], s[22:23]
	s_mov_b32 s16, 0xeb564b22
	ds_read_b128 v[48:51], v190 offset:7040
	ds_read_b128 v[52:55], v190 offset:16896
	v_add_f64 v[0:1], v[20:21], v[0:1]
	v_fma_f64 v[2:3], s[10:11], v[134:135], v[82:83]
	v_add_f64 v[142:143], v[24:25], -v[32:33]
	v_mul_f64 v[86:87], v[136:137], s[12:13]
	v_fma_f64 v[4:5], v[132:133], s[12:13], -v[84:85]
	s_mov_b32 s14, 0x3259b75e
	s_mov_b32 s17, 0xbfefdd0d
	s_waitcnt lgkmcnt(4)
	v_add_f64 v[146:147], v[30:31], -v[38:39]
	v_add_f64 v[2:3], v[22:23], v[2:3]
	v_add_f64 v[0:1], v[4:5], v[0:1]
	v_fma_f64 v[4:5], s[22:23], v[142:143], v[86:87]
	s_mov_b32 s15, 0x3fb79ee6
	v_add_f64 v[138:139], v[28:29], v[36:37]
	v_mul_f64 v[88:89], v[146:147], s[16:17]
	v_add_f64 v[144:145], v[30:31], v[38:39]
	s_mov_b32 s48, 0x6c9a05f6
	ds_read_b128 v[56:59], v190 offset:15488
	ds_read_b128 v[60:63], v190 offset:8448
	v_add_f64 v[2:3], v[4:5], v[2:3]
	v_fma_f64 v[4:5], v[138:139], s[14:15], -v[88:89]
	v_add_f64 v[150:151], v[28:29], -v[36:37]
	v_mul_f64 v[90:91], v[144:145], s[14:15]
	s_mov_b32 s18, 0x6ed5f1bb
	s_mov_b32 s49, 0x3fe9895b
	s_waitcnt lgkmcnt(4)
	v_add_f64 v[156:157], v[46:47], -v[42:43]
	v_add_f64 v[0:1], v[4:5], v[0:1]
	v_fma_f64 v[4:5], s[16:17], v[150:151], v[90:91]
	s_mov_b32 s19, 0xbfe348c8
	v_add_f64 v[148:149], v[44:45], v[40:41]
	v_mul_f64 v[92:93], v[156:157], s[48:49]
	v_add_f64 v[152:153], v[46:47], v[42:43]
	s_mov_b32 s38, 0x5d8e7cdc
	ds_read_b128 v[64:67], v190 offset:9856
	ds_read_b128 v[68:71], v190 offset:14080
	v_add_f64 v[2:3], v[4:5], v[2:3]
	v_fma_f64 v[4:5], v[148:149], s[18:19], -v[92:93]
	v_add_f64 v[160:161], v[44:45], -v[40:41]
	v_mul_f64 v[94:95], v[152:153], s[18:19]
	s_mov_b32 s39, 0x3fd71e95
	s_mov_b32 s20, 0x370991
	;; [unrolled: 1-line block ×4, first 2 shown]
	s_waitcnt lgkmcnt(4)
	v_add_f64 v[162:163], v[50:51], -v[54:55]
	v_add_f64 v[0:1], v[4:5], v[0:1]
	v_fma_f64 v[4:5], s[48:49], v[160:161], v[94:95]
	s_mov_b32 s21, 0x3fedd6d0
	v_add_f64 v[154:155], v[48:49], v[52:53]
	v_mul_f64 v[96:97], v[162:163], s[24:25]
	v_add_f64 v[158:159], v[50:51], v[54:55]
	s_mov_b32 s30, 0xacd6c6b4
	ds_read_b128 v[72:75], v190 offset:11264
	ds_read_b128 v[76:79], v190 offset:12672
	v_add_f64 v[2:3], v[4:5], v[2:3]
	v_fma_f64 v[4:5], v[154:155], s[20:21], -v[96:97]
	v_add_f64 v[168:169], v[48:49], -v[52:53]
	v_mul_f64 v[98:99], v[158:159], s[20:21]
	s_mov_b32 s31, 0xbfc7851a
	s_mov_b32 s26, 0x7faef3
	s_waitcnt lgkmcnt(4)
	v_add_f64 v[172:173], v[62:63], -v[58:59]
	v_add_f64 v[0:1], v[4:5], v[0:1]
	v_fma_f64 v[4:5], s[24:25], v[168:169], v[98:99]
	s_mov_b32 s27, 0xbfef7484
	v_add_f64 v[164:165], v[60:61], v[56:57]
	v_mul_f64 v[100:101], v[172:173], s[30:31]
	v_add_f64 v[166:167], v[62:63], v[58:59]
	s_mov_b32 s52, 0x2a9d6da3
	v_add_f64 v[2:3], v[4:5], v[2:3]
	v_fma_f64 v[4:5], v[164:165], s[26:27], -v[100:101]
	v_add_f64 v[180:181], v[60:61], -v[56:57]
	v_mul_f64 v[102:103], v[166:167], s[26:27]
	s_mov_b32 s53, 0x3fe58eea
	s_mov_b32 s28, 0x75d4884
	s_waitcnt lgkmcnt(2)
	v_add_f64 v[178:179], v[66:67], -v[70:71]
	v_add_f64 v[0:1], v[4:5], v[0:1]
	v_fma_f64 v[4:5], s[30:31], v[180:181], v[102:103]
	s_mov_b32 s29, 0x3fe7a5f6
	v_add_f64 v[170:171], v[64:65], v[68:69]
	v_mul_f64 v[104:105], v[178:179], s[52:53]
	v_add_f64 v[174:175], v[66:67], v[70:71]
	s_mov_b32 s40, 0x923c349f
	v_add_f64 v[2:3], v[4:5], v[2:3]
	v_fma_f64 v[4:5], v[170:171], s[28:29], -v[104:105]
	v_add_f64 v[184:185], v[64:65], -v[68:69]
	v_mul_f64 v[106:107], v[174:175], s[28:29]
	s_mov_b32 s41, 0xbfeec746
	s_mov_b32 s36, 0xc61f0d01
	s_waitcnt lgkmcnt(0)
	v_add_f64 v[186:187], v[74:75], -v[78:79]
	v_add_f64 v[0:1], v[4:5], v[0:1]
	v_fma_f64 v[4:5], s[52:53], v[184:185], v[106:107]
	s_mov_b32 s37, 0xbfd183b1
	v_add_f64 v[176:177], v[72:73], v[76:77]
	v_mul_f64 v[108:109], v[186:187], s[40:41]
	v_add_f64 v[182:183], v[74:75], v[78:79]
	v_add_f64 v[2:3], v[4:5], v[2:3]
	v_fma_f64 v[4:5], v[176:177], s[36:37], -v[108:109]
	v_add_f64 v[188:189], v[72:73], -v[76:77]
	v_mul_f64 v[110:111], v[182:183], s[36:37]
	v_add_f64 v[0:1], v[4:5], v[0:1]
	v_fma_f64 v[4:5], s[40:41], v[188:189], v[110:111]
	v_mul_f64 v[8:9], v[130:131], s[30:31]
	v_add_f64 v[2:3], v[4:5], v[2:3]
	v_fma_f64 v[4:5], s[26:27], v[126:127], v[8:9]
	;; [unrolled: 3-line block ×3, first 2 shown]
	s_mov_b32 s57, 0x3fc7851a
	s_mov_b32 s56, s30
	v_mul_f64 v[112:113], v[128:129], s[26:27]
	v_add_f64 v[4:5], v[6:7], v[4:5]
	v_fma_f64 v[6:7], s[56:57], v[134:135], v[112:113]
	v_mul_f64 v[114:115], v[136:137], s[20:21]
	v_add_f64 v[6:7], v[22:23], v[6:7]
	v_fma_f64 v[116:117], s[24:25], v[142:143], v[114:115]
	v_add_f64 v[6:7], v[116:117], v[6:7]
	v_mul_f64 v[116:117], v[146:147], s[10:11]
	v_fma_f64 v[118:119], s[4:5], v[138:139], v[116:117]
	v_add_f64 v[4:5], v[118:119], v[4:5]
	s_mov_b32 s51, 0x3fe0d888
	s_mov_b32 s50, s10
	v_mul_f64 v[118:119], v[144:145], s[4:5]
	v_fma_f64 v[192:193], s[50:51], v[150:151], v[118:119]
	v_add_f64 v[6:7], v[192:193], v[6:7]
	v_mul_f64 v[192:193], v[156:157], s[52:53]
	v_fma_f64 v[194:195], s[28:29], v[148:149], v[192:193]
	v_add_f64 v[4:5], v[194:195], v[4:5]
	s_mov_b32 s43, 0xbfe58eea
	s_mov_b32 s42, s52
	v_mul_f64 v[194:195], v[152:153], s[28:29]
	v_fma_f64 v[196:197], s[42:43], v[160:161], v[194:195]
	s_mov_b32 s45, 0xbfe9895b
	s_mov_b32 s44, s48
	v_add_f64 v[6:7], v[196:197], v[6:7]
	v_mul_f64 v[196:197], v[162:163], s[44:45]
	v_fma_f64 v[198:199], s[18:19], v[154:155], v[196:197]
	v_add_f64 v[4:5], v[198:199], v[4:5]
	v_mul_f64 v[198:199], v[158:159], s[18:19]
	v_fma_f64 v[200:201], s[48:49], v[168:169], v[198:199]
	;; [unrolled: 3-line block ×3, first 2 shown]
	v_add_f64 v[4:5], v[202:203], v[4:5]
	s_mov_b32 s47, 0xbfeca52d
	s_mov_b32 s46, s22
	v_mul_f64 v[202:203], v[166:167], s[12:13]
	v_fma_f64 v[204:205], s[46:47], v[180:181], v[202:203]
	v_fma_f64 v[8:9], v[126:127], s[26:27], -v[8:9]
	v_add_f64 v[6:7], v[204:205], v[6:7]
	v_mul_f64 v[204:205], v[178:179], s[40:41]
	v_add_f64 v[8:9], v[20:21], v[8:9]
	v_fma_f64 v[10:11], v[132:133], s[20:21], -v[10:11]
	v_fmac_f64_e32 v[112:113], s[30:31], v[134:135]
	v_fma_f64 v[206:207], s[36:37], v[170:171], v[204:205]
	v_add_f64 v[8:9], v[10:11], v[8:9]
	v_add_f64 v[10:11], v[22:23], v[112:113]
	v_fmac_f64_e32 v[114:115], s[38:39], v[142:143]
	v_add_f64 v[4:5], v[206:207], v[4:5]
	s_mov_b32 s55, 0x3feec746
	s_mov_b32 s54, s40
	v_mul_f64 v[206:207], v[174:175], s[36:37]
	v_add_f64 v[10:11], v[114:115], v[10:11]
	v_fma_f64 v[112:113], v[138:139], s[4:5], -v[116:117]
	v_fmac_f64_e32 v[118:119], s[10:11], v[150:151]
	v_fma_f64 v[208:209], s[54:55], v[184:185], v[206:207]
	s_mov_b32 s59, 0x3fefdd0d
	s_mov_b32 s58, s16
	v_add_f64 v[8:9], v[112:113], v[8:9]
	v_add_f64 v[10:11], v[118:119], v[10:11]
	v_fma_f64 v[112:113], v[148:149], s[28:29], -v[192:193]
	v_fmac_f64_e32 v[194:195], s[52:53], v[160:161]
	v_add_f64 v[6:7], v[208:209], v[6:7]
	v_mul_f64 v[208:209], v[186:187], s[58:59]
	v_add_f64 v[8:9], v[112:113], v[8:9]
	v_add_f64 v[10:11], v[194:195], v[10:11]
	v_fma_f64 v[112:113], v[154:155], s[18:19], -v[196:197]
	v_fmac_f64_e32 v[198:199], s[44:45], v[168:169]
	v_fma_f64 v[210:211], s[14:15], v[176:177], v[208:209]
	v_add_f64 v[8:9], v[112:113], v[8:9]
	v_add_f64 v[10:11], v[198:199], v[10:11]
	v_fma_f64 v[112:113], v[164:165], s[12:13], -v[200:201]
	v_fmac_f64_e32 v[202:203], s[22:23], v[180:181]
	v_add_f64 v[4:5], v[210:211], v[4:5]
	v_mul_f64 v[210:211], v[182:183], s[14:15]
	v_add_f64 v[8:9], v[112:113], v[8:9]
	v_add_f64 v[10:11], v[202:203], v[10:11]
	v_fma_f64 v[112:113], v[170:171], s[36:37], -v[204:205]
	v_fmac_f64_e32 v[206:207], s[40:41], v[184:185]
	v_fma_f64 v[212:213], s[16:17], v[188:189], v[210:211]
	v_add_f64 v[8:9], v[112:113], v[8:9]
	v_add_f64 v[10:11], v[206:207], v[10:11]
	v_fma_f64 v[112:113], v[176:177], s[14:15], -v[208:209]
	v_fmac_f64_e32 v[210:211], s[58:59], v[188:189]
	s_movk_i32 s33, 0x58
	v_add_f64 v[6:7], v[212:213], v[6:7]
	v_add_f64 v[8:9], v[112:113], v[8:9]
	;; [unrolled: 1-line block ×3, first 2 shown]
	v_cmp_gt_u32_e32 vcc, s33, v124
	s_barrier
	s_and_saveexec_b64 s[34:35], vcc
	s_cbranch_execz .LBB0_15
; %bb.14:
	v_mul_f64 v[114:115], v[134:135], s[10:11]
	v_mul_f64 v[118:119], v[142:143], s[22:23]
	v_add_f64 v[82:83], v[82:83], -v[114:115]
	v_mul_f64 v[194:195], v[150:151], s[16:17]
	v_add_f64 v[86:87], v[86:87], -v[118:119]
	v_add_f64 v[82:83], v[22:23], v[82:83]
	v_mul_f64 v[198:199], v[160:161], s[48:49]
	v_add_f64 v[90:91], v[90:91], -v[194:195]
	v_add_f64 v[82:83], v[86:87], v[82:83]
	;; [unrolled: 3-line block ×3, first 2 shown]
	v_mul_f64 v[112:113], v[126:127], s[4:5]
	v_mul_f64 v[206:207], v[180:181], s[30:31]
	v_add_f64 v[98:99], v[98:99], -v[202:203]
	v_add_f64 v[82:83], v[94:95], v[82:83]
	v_mul_f64 v[116:117], v[132:133], s[12:13]
	v_mul_f64 v[210:211], v[184:185], s[52:53]
	v_add_f64 v[102:103], v[102:103], -v[206:207]
	v_add_f64 v[82:83], v[98:99], v[82:83]
	v_add_f64 v[80:81], v[112:113], v[80:81]
	v_mul_f64 v[192:193], v[138:139], s[14:15]
	v_mul_f64 v[212:213], v[176:177], s[36:37]
	;; [unrolled: 1-line block ×3, first 2 shown]
	v_add_f64 v[106:107], v[106:107], -v[210:211]
	v_add_f64 v[82:83], v[102:103], v[82:83]
	v_add_f64 v[84:85], v[116:117], v[84:85]
	;; [unrolled: 1-line block ×3, first 2 shown]
	v_mul_f64 v[112:113], v[134:135], s[44:45]
	v_mul_f64 v[196:197], v[148:149], s[18:19]
	;; [unrolled: 1-line block ×4, first 2 shown]
	v_add_f64 v[110:111], v[110:111], -v[214:215]
	v_add_f64 v[82:83], v[106:107], v[82:83]
	v_add_f64 v[86:87], v[212:213], v[108:109]
	;; [unrolled: 1-line block ×4, first 2 shown]
	v_mul_f64 v[108:109], v[142:143], s[54:55]
	v_fma_f64 v[114:115], s[18:19], v[128:129], v[112:113]
	v_mul_f64 v[202:203], v[130:131], s[44:45]
	v_mul_f64 v[200:201], v[154:155], s[20:21]
	v_add_f64 v[82:83], v[110:111], v[82:83]
	v_add_f64 v[90:91], v[208:209], v[104:105]
	;; [unrolled: 1-line block ×5, first 2 shown]
	v_mul_f64 v[104:105], v[150:151], s[24:25]
	v_fma_f64 v[110:111], s[36:37], v[136:137], v[108:109]
	v_add_f64 v[114:115], v[22:23], v[114:115]
	v_mul_f64 v[198:199], v[140:141], s[54:55]
	v_fma_f64 v[204:205], v[126:127], s[18:19], -v[202:203]
	v_add_f64 v[96:97], v[200:201], v[96:97]
	v_add_f64 v[80:81], v[92:93], v[80:81]
	v_mul_f64 v[100:101], v[160:161], s[10:11]
	v_fma_f64 v[106:107], s[20:21], v[144:145], v[104:105]
	v_add_f64 v[110:111], v[110:111], v[114:115]
	v_mul_f64 v[194:195], v[146:147], s[24:25]
	v_fma_f64 v[200:201], v[132:133], s[36:37], -v[198:199]
	v_add_f64 v[204:205], v[20:21], v[204:205]
	v_add_f64 v[80:81], v[96:97], v[80:81]
	;; [unrolled: 7-line block ×5, first 2 shown]
	v_mul_f64 v[88:89], v[188:189], s[22:23]
	v_fma_f64 v[86:87], s[26:27], v[174:175], v[90:91]
	v_add_f64 v[94:95], v[94:95], v[98:99]
	v_mul_f64 v[98:99], v[178:179], s[30:31]
	v_fma_f64 v[110:111], v[164:165], s[28:29], -v[106:107]
	v_add_f64 v[116:117], v[116:117], v[192:193]
	v_fma_f64 v[84:85], s[12:13], v[182:183], v[88:89]
	v_add_f64 v[86:87], v[86:87], v[94:95]
	v_mul_f64 v[94:95], v[186:187], s[22:23]
	v_fma_f64 v[102:103], v[170:171], s[26:27], -v[98:99]
	v_add_f64 v[110:111], v[110:111], v[116:117]
	v_add_f64 v[86:87], v[84:85], v[86:87]
	v_fma_f64 v[84:85], v[176:177], s[12:13], -v[94:95]
	v_add_f64 v[102:103], v[102:103], v[110:111]
	v_add_f64 v[84:85], v[84:85], v[102:103]
	v_fma_f64 v[102:103], v[144:145], s[20:21], -v[104:105]
	v_fma_f64 v[104:105], v[136:137], s[36:37], -v[108:109]
	;; [unrolled: 1-line block ×3, first 2 shown]
	v_add_f64 v[108:109], v[22:23], v[108:109]
	v_add_f64 v[104:105], v[104:105], v[108:109]
	v_fma_f64 v[100:101], v[152:153], s[4:5], -v[100:101]
	v_add_f64 v[102:103], v[102:103], v[104:105]
	v_fma_f64 v[96:97], v[158:159], s[14:15], -v[96:97]
	;; [unrolled: 2-line block ×5, first 2 shown]
	v_add_f64 v[90:91], v[90:91], v[92:93]
	v_fmac_f64_e32 v[202:203], s[18:19], v[126:127]
	v_add_f64 v[90:91], v[88:89], v[90:91]
	v_fmac_f64_e32 v[198:199], s[36:37], v[132:133]
	;; [unrolled: 2-line block ×3, first 2 shown]
	v_add_f64 v[88:89], v[198:199], v[88:89]
	v_mul_f64 v[192:193], v[134:135], s[40:41]
	v_fmac_f64_e32 v[118:119], s[4:5], v[148:149]
	v_add_f64 v[88:89], v[194:195], v[88:89]
	v_mul_f64 v[116:117], v[142:143], s[50:51]
	v_fma_f64 v[194:195], s[36:37], v[128:129], v[192:193]
	v_mul_f64 v[210:211], v[130:131], s[40:41]
	v_fmac_f64_e32 v[114:115], s[14:15], v[154:155]
	v_add_f64 v[88:89], v[118:119], v[88:89]
	v_mul_f64 v[112:113], v[150:151], s[52:53]
	v_fma_f64 v[118:119], s[4:5], v[136:137], v[116:117]
	v_add_f64 v[194:195], v[22:23], v[194:195]
	v_mul_f64 v[206:207], v[140:141], s[50:51]
	v_fma_f64 v[212:213], v[126:127], s[36:37], -v[210:211]
	v_add_f64 v[88:89], v[114:115], v[88:89]
	v_mul_f64 v[108:109], v[160:161], s[46:47]
	v_fma_f64 v[114:115], s[28:29], v[144:145], v[112:113]
	v_add_f64 v[118:119], v[118:119], v[194:195]
	v_mul_f64 v[202:203], v[146:147], s[52:53]
	v_fma_f64 v[208:209], v[132:133], s[4:5], -v[206:207]
	v_add_f64 v[212:213], v[20:21], v[212:213]
	v_fmac_f64_e32 v[106:107], s[28:29], v[164:165]
	v_mul_f64 v[104:105], v[168:169], s[30:31]
	v_fma_f64 v[110:111], s[12:13], v[152:153], v[108:109]
	v_add_f64 v[114:115], v[114:115], v[118:119]
	v_mul_f64 v[198:199], v[156:157], s[46:47]
	v_fma_f64 v[204:205], v[138:139], s[28:29], -v[202:203]
	v_add_f64 v[208:209], v[208:209], v[212:213]
	v_fmac_f64_e32 v[98:99], s[26:27], v[170:171]
	v_add_f64 v[88:89], v[106:107], v[88:89]
	v_mul_f64 v[100:101], v[180:181], s[58:59]
	v_fma_f64 v[106:107], s[26:27], v[158:159], v[104:105]
	v_add_f64 v[110:111], v[110:111], v[114:115]
	v_mul_f64 v[194:195], v[162:163], s[30:31]
	v_fma_f64 v[200:201], v[148:149], s[12:13], -v[198:199]
	v_add_f64 v[204:205], v[204:205], v[208:209]
	v_fmac_f64_e32 v[94:95], s[12:13], v[176:177]
	v_add_f64 v[88:89], v[98:99], v[88:89]
	v_mul_f64 v[98:99], v[184:185], s[24:25]
	v_fma_f64 v[102:103], s[14:15], v[166:167], v[100:101]
	v_add_f64 v[106:107], v[106:107], v[110:111]
	v_mul_f64 v[114:115], v[172:173], s[58:59]
	v_fma_f64 v[196:197], v[154:155], s[26:27], -v[194:195]
	v_add_f64 v[200:201], v[200:201], v[204:205]
	v_add_f64 v[88:89], v[94:95], v[88:89]
	v_mul_f64 v[96:97], v[188:189], s[44:45]
	v_fma_f64 v[94:95], s[20:21], v[174:175], v[98:99]
	v_add_f64 v[102:103], v[102:103], v[106:107]
	v_mul_f64 v[110:111], v[178:179], s[24:25]
	v_fma_f64 v[118:119], v[164:165], s[14:15], -v[114:115]
	v_add_f64 v[196:197], v[196:197], v[200:201]
	v_fma_f64 v[92:93], s[18:19], v[182:183], v[96:97]
	v_add_f64 v[94:95], v[94:95], v[102:103]
	v_mul_f64 v[106:107], v[186:187], s[44:45]
	v_fma_f64 v[102:103], v[170:171], s[20:21], -v[110:111]
	v_add_f64 v[118:119], v[118:119], v[196:197]
	v_add_f64 v[94:95], v[92:93], v[94:95]
	v_fma_f64 v[92:93], v[176:177], s[18:19], -v[106:107]
	v_add_f64 v[102:103], v[102:103], v[118:119]
	v_add_f64 v[92:93], v[92:93], v[102:103]
	v_fma_f64 v[102:103], v[158:159], s[26:27], -v[104:105]
	v_fma_f64 v[104:105], v[152:153], s[12:13], -v[108:109]
	;; [unrolled: 1-line block ×5, first 2 shown]
	v_add_f64 v[116:117], v[22:23], v[116:117]
	v_add_f64 v[112:113], v[112:113], v[116:117]
	;; [unrolled: 1-line block ×4, first 2 shown]
	v_fma_f64 v[100:101], v[166:167], s[14:15], -v[100:101]
	v_add_f64 v[102:103], v[102:103], v[104:105]
	v_fma_f64 v[98:99], v[174:175], s[20:21], -v[98:99]
	v_add_f64 v[100:101], v[100:101], v[102:103]
	;; [unrolled: 2-line block ×3, first 2 shown]
	v_fmac_f64_e32 v[210:211], s[36:37], v[126:127]
	v_add_f64 v[102:103], v[96:97], v[98:99]
	v_fmac_f64_e32 v[206:207], s[4:5], v[132:133]
	v_add_f64 v[96:97], v[20:21], v[210:211]
	;; [unrolled: 2-line block ×3, first 2 shown]
	v_mul_f64 v[200:201], v[134:135], s[16:17]
	v_fmac_f64_e32 v[198:199], s[12:13], v[148:149]
	v_add_f64 v[96:97], v[202:203], v[96:97]
	v_mul_f64 v[196:197], v[142:143], s[30:31]
	v_fma_f64 v[202:203], s[14:15], v[128:129], v[200:201]
	v_mul_f64 v[218:219], v[130:131], s[16:17]
	v_fmac_f64_e32 v[194:195], s[26:27], v[154:155]
	v_add_f64 v[96:97], v[198:199], v[96:97]
	v_mul_f64 v[192:193], v[150:151], s[54:55]
	v_fma_f64 v[198:199], s[26:27], v[136:137], v[196:197]
	v_add_f64 v[202:203], v[22:23], v[202:203]
	v_mul_f64 v[214:215], v[140:141], s[30:31]
	v_fma_f64 v[220:221], v[126:127], s[14:15], -v[218:219]
	v_fmac_f64_e32 v[114:115], s[14:15], v[164:165]
	v_add_f64 v[96:97], v[194:195], v[96:97]
	v_mul_f64 v[116:117], v[160:161], s[38:39]
	v_fma_f64 v[194:195], s[36:37], v[144:145], v[192:193]
	v_add_f64 v[198:199], v[198:199], v[202:203]
	v_mul_f64 v[210:211], v[146:147], s[54:55]
	v_fma_f64 v[216:217], v[132:133], s[26:27], -v[214:215]
	v_add_f64 v[220:221], v[20:21], v[220:221]
	v_fmac_f64_e32 v[110:111], s[20:21], v[170:171]
	v_add_f64 v[96:97], v[114:115], v[96:97]
	v_mul_f64 v[112:113], v[168:169], s[46:47]
	v_fma_f64 v[118:119], s[20:21], v[152:153], v[116:117]
	v_add_f64 v[194:195], v[194:195], v[198:199]
	v_mul_f64 v[206:207], v[156:157], s[38:39]
	v_fma_f64 v[212:213], v[138:139], s[36:37], -v[210:211]
	v_add_f64 v[216:217], v[216:217], v[220:221]
	;; [unrolled: 8-line block ×3, first 2 shown]
	v_add_f64 v[100:101], v[106:107], v[96:97]
	v_mul_f64 v[106:107], v[184:185], s[48:49]
	v_fma_f64 v[110:111], s[4:5], v[166:167], v[108:109]
	v_add_f64 v[114:115], v[114:115], v[118:119]
	v_mul_f64 v[194:195], v[172:173], s[10:11]
	v_fma_f64 v[204:205], v[154:155], s[12:13], -v[202:203]
	v_add_f64 v[208:209], v[208:209], v[212:213]
	v_mul_f64 v[104:105], v[188:189], s[52:53]
	v_fma_f64 v[98:99], s[18:19], v[174:175], v[106:107]
	v_add_f64 v[110:111], v[110:111], v[114:115]
	v_mul_f64 v[118:119], v[178:179], s[48:49]
	v_fma_f64 v[198:199], v[164:165], s[4:5], -v[194:195]
	v_add_f64 v[204:205], v[204:205], v[208:209]
	v_fma_f64 v[96:97], s[28:29], v[182:183], v[104:105]
	v_add_f64 v[98:99], v[98:99], v[110:111]
	v_mul_f64 v[114:115], v[186:187], s[52:53]
	v_fma_f64 v[110:111], v[170:171], s[18:19], -v[118:119]
	v_add_f64 v[198:199], v[198:199], v[204:205]
	v_add_f64 v[98:99], v[96:97], v[98:99]
	v_fma_f64 v[96:97], v[176:177], s[28:29], -v[114:115]
	v_add_f64 v[110:111], v[110:111], v[198:199]
	v_add_f64 v[96:97], v[96:97], v[110:111]
	v_fma_f64 v[110:111], v[158:159], s[12:13], -v[112:113]
	v_fma_f64 v[112:113], v[152:153], s[20:21], -v[116:117]
	;; [unrolled: 1-line block ×5, first 2 shown]
	v_add_f64 v[196:197], v[22:23], v[196:197]
	v_add_f64 v[192:193], v[192:193], v[196:197]
	;; [unrolled: 1-line block ×4, first 2 shown]
	v_fma_f64 v[108:109], v[166:167], s[4:5], -v[108:109]
	v_add_f64 v[110:111], v[110:111], v[112:113]
	v_fma_f64 v[106:107], v[174:175], s[18:19], -v[106:107]
	v_add_f64 v[108:109], v[108:109], v[110:111]
	;; [unrolled: 2-line block ×3, first 2 shown]
	v_fmac_f64_e32 v[218:219], s[14:15], v[126:127]
	v_add_f64 v[110:111], v[104:105], v[106:107]
	v_fmac_f64_e32 v[214:215], s[26:27], v[132:133]
	v_add_f64 v[104:105], v[20:21], v[218:219]
	;; [unrolled: 2-line block ×3, first 2 shown]
	v_mul_f64 v[208:209], v[134:135], s[46:47]
	v_fmac_f64_e32 v[206:207], s[20:21], v[148:149]
	v_add_f64 v[104:105], v[210:211], v[104:105]
	v_mul_f64 v[204:205], v[142:143], s[44:45]
	v_fma_f64 v[210:211], s[12:13], v[128:129], v[208:209]
	v_mul_f64 v[226:227], v[130:131], s[46:47]
	v_fmac_f64_e32 v[202:203], s[12:13], v[154:155]
	v_add_f64 v[104:105], v[206:207], v[104:105]
	v_mul_f64 v[200:201], v[150:151], s[56:57]
	v_fma_f64 v[206:207], s[18:19], v[136:137], v[204:205]
	v_add_f64 v[210:211], v[22:23], v[210:211]
	v_mul_f64 v[222:223], v[140:141], s[44:45]
	v_fma_f64 v[228:229], v[126:127], s[12:13], -v[226:227]
	v_fmac_f64_e32 v[194:195], s[4:5], v[164:165]
	v_add_f64 v[104:105], v[202:203], v[104:105]
	v_mul_f64 v[196:197], v[160:161], s[54:55]
	v_fma_f64 v[202:203], s[26:27], v[144:145], v[200:201]
	v_add_f64 v[206:207], v[206:207], v[210:211]
	v_mul_f64 v[218:219], v[146:147], s[56:57]
	v_fma_f64 v[224:225], v[132:133], s[18:19], -v[222:223]
	v_add_f64 v[228:229], v[20:21], v[228:229]
	v_fmac_f64_e32 v[118:119], s[18:19], v[170:171]
	v_add_f64 v[104:105], v[194:195], v[104:105]
	v_mul_f64 v[192:193], v[168:169], s[52:53]
	v_fma_f64 v[198:199], s[36:37], v[152:153], v[196:197]
	v_add_f64 v[202:203], v[202:203], v[206:207]
	v_mul_f64 v[214:215], v[156:157], s[54:55]
	v_fma_f64 v[220:221], v[138:139], s[26:27], -v[218:219]
	v_add_f64 v[224:225], v[224:225], v[228:229]
	;; [unrolled: 8-line block ×3, first 2 shown]
	v_add_f64 v[108:109], v[114:115], v[104:105]
	v_mul_f64 v[114:115], v[184:185], s[16:17]
	v_fma_f64 v[118:119], s[20:21], v[166:167], v[116:117]
	v_add_f64 v[194:195], v[194:195], v[198:199]
	v_mul_f64 v[202:203], v[172:173], s[24:25]
	v_fma_f64 v[212:213], v[154:155], s[28:29], -v[210:211]
	v_add_f64 v[216:217], v[216:217], v[220:221]
	v_mul_f64 v[112:113], v[188:189], s[10:11]
	v_fma_f64 v[106:107], s[14:15], v[174:175], v[114:115]
	v_add_f64 v[118:119], v[118:119], v[194:195]
	v_mul_f64 v[198:199], v[178:179], s[16:17]
	v_fma_f64 v[206:207], v[164:165], s[20:21], -v[202:203]
	v_add_f64 v[212:213], v[212:213], v[216:217]
	v_fma_f64 v[104:105], s[4:5], v[182:183], v[112:113]
	v_add_f64 v[106:107], v[106:107], v[118:119]
	v_mul_f64 v[194:195], v[186:187], s[10:11]
	v_fma_f64 v[118:119], v[170:171], s[14:15], -v[198:199]
	v_add_f64 v[206:207], v[206:207], v[212:213]
	v_add_f64 v[106:107], v[104:105], v[106:107]
	v_fma_f64 v[104:105], v[176:177], s[4:5], -v[194:195]
	v_add_f64 v[118:119], v[118:119], v[206:207]
	v_add_f64 v[104:105], v[104:105], v[118:119]
	v_fma_f64 v[118:119], v[158:159], s[28:29], -v[192:193]
	v_fma_f64 v[192:193], v[152:153], s[36:37], -v[196:197]
	;; [unrolled: 1-line block ×5, first 2 shown]
	v_add_f64 v[204:205], v[22:23], v[204:205]
	v_add_f64 v[200:201], v[200:201], v[204:205]
	;; [unrolled: 1-line block ×4, first 2 shown]
	v_fma_f64 v[116:117], v[166:167], s[20:21], -v[116:117]
	v_add_f64 v[118:119], v[118:119], v[192:193]
	v_fma_f64 v[114:115], v[174:175], s[14:15], -v[114:115]
	v_add_f64 v[116:117], v[116:117], v[118:119]
	;; [unrolled: 2-line block ×3, first 2 shown]
	v_fmac_f64_e32 v[226:227], s[12:13], v[126:127]
	v_add_f64 v[118:119], v[112:113], v[114:115]
	v_fmac_f64_e32 v[222:223], s[18:19], v[132:133]
	v_add_f64 v[112:113], v[20:21], v[226:227]
	;; [unrolled: 2-line block ×3, first 2 shown]
	v_mul_f64 v[216:217], v[134:135], s[42:43]
	v_fmac_f64_e32 v[214:215], s[36:37], v[148:149]
	v_add_f64 v[112:113], v[218:219], v[112:113]
	v_mul_f64 v[212:213], v[142:143], s[16:17]
	v_fma_f64 v[218:219], s[28:29], v[128:129], v[216:217]
	v_mul_f64 v[234:235], v[130:131], s[42:43]
	v_fmac_f64_e32 v[210:211], s[28:29], v[154:155]
	v_add_f64 v[112:113], v[214:215], v[112:113]
	v_mul_f64 v[208:209], v[150:151], s[44:45]
	v_fma_f64 v[214:215], s[14:15], v[136:137], v[212:213]
	v_add_f64 v[218:219], v[22:23], v[218:219]
	v_mul_f64 v[230:231], v[140:141], s[16:17]
	v_fma_f64 v[236:237], v[126:127], s[28:29], -v[234:235]
	v_fmac_f64_e32 v[202:203], s[20:21], v[164:165]
	v_add_f64 v[112:113], v[210:211], v[112:113]
	v_mul_f64 v[204:205], v[160:161], s[30:31]
	v_fma_f64 v[210:211], s[18:19], v[144:145], v[208:209]
	v_add_f64 v[214:215], v[214:215], v[218:219]
	v_mul_f64 v[226:227], v[146:147], s[44:45]
	v_fma_f64 v[232:233], v[132:133], s[14:15], -v[230:231]
	v_add_f64 v[236:237], v[20:21], v[236:237]
	v_fmac_f64_e32 v[198:199], s[14:15], v[170:171]
	v_add_f64 v[112:113], v[202:203], v[112:113]
	v_mul_f64 v[200:201], v[168:169], s[50:51]
	v_fma_f64 v[206:207], s[26:27], v[152:153], v[204:205]
	v_add_f64 v[210:211], v[210:211], v[214:215]
	v_mul_f64 v[222:223], v[156:157], s[30:31]
	v_fma_f64 v[228:229], v[138:139], s[18:19], -v[226:227]
	v_add_f64 v[232:233], v[232:233], v[236:237]
	;; [unrolled: 8-line block ×3, first 2 shown]
	v_add_f64 v[116:117], v[194:195], v[112:113]
	v_mul_f64 v[194:195], v[184:185], s[22:23]
	v_fma_f64 v[198:199], s[36:37], v[166:167], v[196:197]
	v_add_f64 v[202:203], v[202:203], v[206:207]
	v_mul_f64 v[210:211], v[172:173], s[54:55]
	v_fma_f64 v[220:221], v[154:155], s[4:5], -v[218:219]
	v_add_f64 v[224:225], v[224:225], v[228:229]
	v_mul_f64 v[192:193], v[188:189], s[38:39]
	v_fma_f64 v[114:115], s[12:13], v[174:175], v[194:195]
	v_add_f64 v[198:199], v[198:199], v[202:203]
	v_mul_f64 v[202:203], v[178:179], s[22:23]
	v_fma_f64 v[214:215], v[164:165], s[36:37], -v[210:211]
	v_add_f64 v[220:221], v[220:221], v[224:225]
	v_fma_f64 v[112:113], s[20:21], v[182:183], v[192:193]
	v_add_f64 v[114:115], v[114:115], v[198:199]
	v_mul_f64 v[198:199], v[186:187], s[38:39]
	v_fma_f64 v[206:207], v[170:171], s[12:13], -v[202:203]
	v_add_f64 v[214:215], v[214:215], v[220:221]
	v_add_f64 v[114:115], v[112:113], v[114:115]
	v_fma_f64 v[112:113], v[176:177], s[20:21], -v[198:199]
	v_add_f64 v[206:207], v[206:207], v[214:215]
	v_add_f64 v[112:113], v[112:113], v[206:207]
	v_fma_f64 v[206:207], v[144:145], s[18:19], -v[208:209]
	v_fma_f64 v[208:209], v[136:137], s[14:15], -v[212:213]
	v_fma_f64 v[212:213], v[128:129], s[28:29], -v[216:217]
	v_add_f64 v[212:213], v[22:23], v[212:213]
	v_add_f64 v[208:209], v[208:209], v[212:213]
	v_fma_f64 v[204:205], v[152:153], s[26:27], -v[204:205]
	v_add_f64 v[206:207], v[206:207], v[208:209]
	v_fma_f64 v[200:201], v[158:159], s[4:5], -v[200:201]
	;; [unrolled: 2-line block ×5, first 2 shown]
	v_add_f64 v[194:195], v[194:195], v[196:197]
	v_fmac_f64_e32 v[234:235], s[28:29], v[126:127]
	v_add_f64 v[18:19], v[22:23], v[18:19]
	v_add_f64 v[16:17], v[20:21], v[16:17]
	v_add_f64 v[194:195], v[192:193], v[194:195]
	v_fmac_f64_e32 v[230:231], s[14:15], v[132:133]
	v_add_f64 v[192:193], v[20:21], v[234:235]
	v_add_f64 v[18:19], v[18:19], v[26:27]
	;; [unrolled: 4-line block ×5, first 2 shown]
	v_add_f64 v[16:17], v[16:17], v[48:49]
	v_fmac_f64_e32 v[210:211], s[36:37], v[164:165]
	v_add_f64 v[192:193], v[218:219], v[192:193]
	v_mul_f64 v[134:135], v[134:135], s[24:25]
	v_add_f64 v[18:19], v[18:19], v[62:63]
	v_add_f64 v[16:17], v[16:17], v[60:61]
	;; [unrolled: 1-line block ×3, first 2 shown]
	v_mul_f64 v[208:209], v[142:143], s[42:43]
	v_fma_f64 v[210:211], s[20:21], v[128:129], v[134:135]
	v_add_f64 v[18:19], v[18:19], v[66:67]
	v_add_f64 v[16:17], v[16:17], v[64:65]
	v_fma_f64 v[142:143], s[28:29], v[136:137], v[208:209]
	v_add_f64 v[210:211], v[22:23], v[210:211]
	v_mul_f64 v[130:131], v[130:131], s[24:25]
	v_add_f64 v[18:19], v[18:19], v[74:75]
	v_add_f64 v[16:17], v[16:17], v[72:73]
	v_mul_f64 v[150:151], v[150:151], s[46:47]
	v_add_f64 v[142:143], v[142:143], v[210:211]
	v_mul_f64 v[210:211], v[140:141], s[42:43]
	v_fma_f64 v[212:213], v[126:127], s[20:21], -v[130:131]
	v_fma_f64 v[128:129], v[128:129], s[20:21], -v[134:135]
	v_fmac_f64_e32 v[130:131], s[20:21], v[126:127]
	v_add_f64 v[18:19], v[18:19], v[78:79]
	v_add_f64 v[16:17], v[16:17], v[76:77]
	v_mul_f64 v[160:161], v[160:161], s[16:17]
	v_fma_f64 v[206:207], s[12:13], v[144:145], v[150:151]
	v_mul_f64 v[146:147], v[146:147], s[46:47]
	v_fma_f64 v[140:141], v[132:133], s[28:29], -v[210:211]
	v_add_f64 v[212:213], v[20:21], v[212:213]
	v_fma_f64 v[136:137], v[136:137], s[28:29], -v[208:209]
	v_add_f64 v[128:129], v[22:23], v[128:129]
	v_fmac_f64_e32 v[210:211], s[28:29], v[132:133]
	v_add_f64 v[126:127], v[20:21], v[130:131]
	v_add_f64 v[18:19], v[18:19], v[70:71]
	;; [unrolled: 1-line block ×3, first 2 shown]
	v_fmac_f64_e32 v[202:203], s[12:13], v[170:171]
	v_mul_f64 v[168:169], v[168:169], s[40:41]
	v_fma_f64 v[204:205], s[14:15], v[152:153], v[160:161]
	v_add_f64 v[142:143], v[206:207], v[142:143]
	v_mul_f64 v[156:157], v[156:157], s[16:17]
	v_fma_f64 v[206:207], v[138:139], s[12:13], -v[146:147]
	v_add_f64 v[140:141], v[140:141], v[212:213]
	v_fma_f64 v[144:145], v[144:145], s[12:13], -v[150:151]
	v_add_f64 v[128:129], v[136:137], v[128:129]
	v_fmac_f64_e32 v[146:147], s[12:13], v[138:139]
	v_add_f64 v[126:127], v[210:211], v[126:127]
	v_add_f64 v[18:19], v[18:19], v[58:59]
	;; [unrolled: 1-line block ×4, first 2 shown]
	v_mul_f64 v[180:181], v[180:181], s[44:45]
	v_fma_f64 v[202:203], s[36:37], v[158:159], v[168:169]
	v_add_f64 v[142:143], v[204:205], v[142:143]
	v_mul_f64 v[162:163], v[162:163], s[40:41]
	v_fma_f64 v[204:205], v[148:149], s[14:15], -v[156:157]
	v_add_f64 v[140:141], v[206:207], v[140:141]
	v_fma_f64 v[152:153], v[152:153], s[14:15], -v[160:161]
	v_add_f64 v[128:129], v[144:145], v[128:129]
	v_fmac_f64_e32 v[156:157], s[14:15], v[148:149]
	v_add_f64 v[126:127], v[146:147], v[126:127]
	v_add_f64 v[18:19], v[18:19], v[54:55]
	;; [unrolled: 1-line block ×3, first 2 shown]
	v_fmac_f64_e32 v[198:199], s[20:21], v[176:177]
	v_mul_f64 v[184:185], v[184:185], s[10:11]
	v_fma_f64 v[200:201], s[18:19], v[166:167], v[180:181]
	v_add_f64 v[142:143], v[202:203], v[142:143]
	v_mul_f64 v[172:173], v[172:173], s[44:45]
	v_fma_f64 v[202:203], v[154:155], s[36:37], -v[162:163]
	v_add_f64 v[140:141], v[204:205], v[140:141]
	v_fma_f64 v[158:159], v[158:159], s[36:37], -v[168:169]
	v_add_f64 v[128:129], v[152:153], v[128:129]
	v_fmac_f64_e32 v[162:163], s[36:37], v[154:155]
	v_add_f64 v[126:127], v[156:157], v[126:127]
	v_add_f64 v[18:19], v[18:19], v[42:43]
	;; [unrolled: 1-line block ×4, first 2 shown]
	v_mul_f64 v[188:189], v[188:189], s[30:31]
	v_fma_f64 v[198:199], s[4:5], v[174:175], v[184:185]
	v_add_f64 v[142:143], v[200:201], v[142:143]
	v_mul_f64 v[178:179], v[178:179], s[10:11]
	v_fma_f64 v[200:201], v[164:165], s[18:19], -v[172:173]
	v_add_f64 v[140:141], v[202:203], v[140:141]
	v_fma_f64 v[166:167], v[166:167], s[18:19], -v[180:181]
	v_add_f64 v[128:129], v[158:159], v[128:129]
	v_fmac_f64_e32 v[172:173], s[18:19], v[164:165]
	v_add_f64 v[126:127], v[162:163], v[126:127]
	v_add_f64 v[18:19], v[18:19], v[38:39]
	;; [unrolled: 1-line block ×3, first 2 shown]
	v_fma_f64 v[196:197], s[26:27], v[182:183], v[188:189]
	v_add_f64 v[142:143], v[198:199], v[142:143]
	v_mul_f64 v[186:187], v[186:187], s[30:31]
	v_fma_f64 v[198:199], v[170:171], s[4:5], -v[178:179]
	v_add_f64 v[140:141], v[200:201], v[140:141]
	v_fma_f64 v[174:175], v[174:175], s[4:5], -v[184:185]
	v_add_f64 v[128:129], v[166:167], v[128:129]
	v_fmac_f64_e32 v[178:179], s[4:5], v[170:171]
	v_add_f64 v[126:127], v[172:173], v[126:127]
	v_add_f64 v[18:19], v[18:19], v[34:35]
	;; [unrolled: 1-line block ×4, first 2 shown]
	v_fma_f64 v[196:197], v[176:177], s[26:27], -v[186:187]
	v_add_f64 v[140:141], v[198:199], v[140:141]
	v_fma_f64 v[182:183], v[182:183], s[26:27], -v[188:189]
	v_add_f64 v[128:129], v[174:175], v[128:129]
	v_fmac_f64_e32 v[186:187], s[26:27], v[176:177]
	v_add_f64 v[126:127], v[178:179], v[126:127]
	v_add_f64 v[14:15], v[18:19], v[14:15]
	v_add_f64 v[12:13], v[16:17], v[12:13]
	v_lshl_add_u32 v16, v124, 8, v190
	v_add_f64 v[140:141], v[196:197], v[140:141]
	v_add_f64 v[128:129], v[182:183], v[128:129]
	;; [unrolled: 1-line block ×3, first 2 shown]
	ds_write_b128 v16, v[12:15]
	ds_write_b128 v16, v[126:129] offset:16
	ds_write_b128 v16, v[192:195] offset:32
	ds_write_b128 v16, v[116:119] offset:48
	ds_write_b128 v16, v[108:111] offset:64
	ds_write_b128 v16, v[100:103] offset:80
	ds_write_b128 v16, v[88:91] offset:96
	ds_write_b128 v16, v[80:83] offset:112
	ds_write_b128 v16, v[4:7] offset:128
	ds_write_b128 v16, v[8:11] offset:144
	ds_write_b128 v16, v[0:3] offset:160
	ds_write_b128 v16, v[84:87] offset:176
	ds_write_b128 v16, v[92:95] offset:192
	ds_write_b128 v16, v[96:99] offset:208
	ds_write_b128 v16, v[104:107] offset:224
	ds_write_b128 v16, v[112:115] offset:240
	ds_write_b128 v16, v[140:143] offset:256
.LBB0_15:
	s_or_b64 exec, exec, s[34:35]
	s_movk_i32 s4, 0xf1
	v_mul_lo_u16_sdwa v12, v124, s4 dst_sel:DWORD dst_unused:UNUSED_PAD src0_sel:BYTE_0 src1_sel:DWORD
	v_lshrrev_b16_e32 v86, 12, v12
	v_mul_lo_u16_e32 v12, 17, v86
	v_sub_u16_e32 v87, v124, v12
	v_mov_b32_e32 v12, 7
	v_mul_u32_u24_sdwa v12, v87, v12 dst_sel:DWORD dst_unused:UNUSED_PAD src0_sel:BYTE_0 src1_sel:DWORD
	v_lshlrev_b32_e32 v40, 4, v12
	s_load_dwordx2 s[2:3], s[2:3], 0x0
	s_waitcnt lgkmcnt(0)
	s_barrier
	global_load_dwordx4 v[12:15], v40, s[8:9]
	global_load_dwordx4 v[16:19], v40, s[8:9] offset:16
	global_load_dwordx4 v[20:23], v40, s[8:9] offset:32
	;; [unrolled: 1-line block ×6, first 2 shown]
	ds_read_b128 v[40:43], v190
	ds_read_b128 v[44:47], v190 offset:2992
	ds_read_b128 v[48:51], v190 offset:5984
	;; [unrolled: 1-line block ×7, first 2 shown]
	s_mov_b32 s4, 0x667f3bcd
	s_mov_b32 s5, 0xbfe6a09e
	;; [unrolled: 1-line block ×4, first 2 shown]
	s_waitcnt lgkmcnt(0)
	s_barrier
	s_waitcnt vmcnt(6)
	v_mul_f64 v[72:73], v[46:47], v[14:15]
	v_mul_f64 v[14:15], v[44:45], v[14:15]
	s_waitcnt vmcnt(5)
	v_mul_f64 v[74:75], v[50:51], v[18:19]
	v_mul_f64 v[18:19], v[48:49], v[18:19]
	;; [unrolled: 3-line block ×7, first 2 shown]
	v_fmac_f64_e32 v[72:73], v[44:45], v[12:13]
	v_fma_f64 v[12:13], v[46:47], v[12:13], -v[14:15]
	v_fmac_f64_e32 v[74:75], v[48:49], v[16:17]
	v_fma_f64 v[14:15], v[50:51], v[16:17], -v[18:19]
	;; [unrolled: 2-line block ×7, first 2 shown]
	v_add_f64 v[26:27], v[40:41], -v[78:79]
	v_add_f64 v[18:19], v[42:43], -v[18:19]
	;; [unrolled: 1-line block ×8, first 2 shown]
	v_fma_f64 v[34:35], v[40:41], 2.0, -v[26:27]
	v_fma_f64 v[36:37], v[42:43], 2.0, -v[18:19]
	;; [unrolled: 1-line block ×7, first 2 shown]
	v_add_f64 v[44:45], v[26:27], v[22:23]
	v_add_f64 v[48:49], v[30:31], v[24:25]
	v_fma_f64 v[14:15], v[14:15], 2.0, -v[22:23]
	v_add_f64 v[46:47], v[18:19], -v[28:29]
	v_add_f64 v[32:33], v[20:21], -v[32:33]
	;; [unrolled: 1-line block ×3, first 2 shown]
	v_fma_f64 v[38:39], v[26:27], 2.0, -v[44:45]
	v_add_f64 v[42:43], v[40:41], -v[42:43]
	v_add_f64 v[52:53], v[12:13], -v[16:17]
	v_fma_f64 v[16:17], v[30:31], 2.0, -v[48:49]
	v_fma_f64 v[18:19], v[18:19], 2.0, -v[46:47]
	;; [unrolled: 1-line block ×4, first 2 shown]
	v_fma_f64 v[28:29], s[4:5], v[16:17], v[38:39]
	v_fma_f64 v[40:41], s[10:11], v[48:49], v[44:45]
	v_add_f64 v[50:51], v[36:37], -v[14:15]
	v_fma_f64 v[30:31], s[4:5], v[20:21], v[18:19]
	v_fmac_f64_e32 v[28:29], s[10:11], v[20:21]
	v_fmac_f64_e32 v[40:41], s[10:11], v[32:33]
	v_fma_f64 v[14:15], v[34:35], 2.0, -v[22:23]
	v_fma_f64 v[34:35], v[36:37], 2.0, -v[50:51]
	;; [unrolled: 1-line block ×3, first 2 shown]
	v_fmac_f64_e32 v[30:31], s[4:5], v[16:17]
	v_fma_f64 v[16:17], v[38:39], 2.0, -v[28:29]
	v_add_f64 v[38:39], v[50:51], -v[42:43]
	v_fma_f64 v[42:43], s[10:11], v[32:33], v[46:47]
	v_fma_f64 v[32:33], v[44:45], 2.0, -v[40:41]
	v_mov_b32_e32 v45, 4
	v_add_f64 v[24:25], v[14:15], -v[24:25]
	v_add_f64 v[26:27], v[34:35], -v[12:13]
	v_add_f64 v[36:37], v[22:23], v[52:53]
	v_fmac_f64_e32 v[42:43], s[4:5], v[48:49]
	v_mul_u32_u24_e32 v44, 0x880, v86
	v_lshlrev_b32_sdwa v45, v45, v87 dst_sel:DWORD dst_unused:UNUSED_PAD src0_sel:DWORD src1_sel:BYTE_0
	s_movk_i32 s4, 0x88
	v_fma_f64 v[12:13], v[14:15], 2.0, -v[24:25]
	v_fma_f64 v[14:15], v[34:35], 2.0, -v[26:27]
	;; [unrolled: 1-line block ×6, first 2 shown]
	v_add3_u32 v44, 0, v44, v45
	v_cmp_gt_u32_e32 vcc, s4, v124
	ds_write_b128 v44, v[12:15]
	ds_write_b128 v44, v[16:19] offset:272
	ds_write_b128 v44, v[20:23] offset:544
	;; [unrolled: 1-line block ×7, first 2 shown]
	s_waitcnt lgkmcnt(0)
	s_barrier
	s_and_saveexec_b64 s[4:5], vcc
	s_cbranch_execz .LBB0_17
; %bb.16:
	ds_read_b128 v[12:15], v190
	ds_read_b128 v[16:19], v190 offset:2176
	ds_read_b128 v[20:23], v190 offset:4352
	ds_read_b128 v[32:35], v190 offset:6528
	ds_read_b128 v[24:27], v190 offset:8704
	ds_read_b128 v[28:31], v190 offset:10880
	ds_read_b128 v[36:39], v190 offset:13056
	ds_read_b128 v[40:43], v190 offset:15232
	ds_read_b128 v[4:7], v190 offset:17408
	ds_read_b128 v[8:11], v190 offset:19584
	ds_read_b128 v[0:3], v190 offset:21760
.LBB0_17:
	s_or_b64 exec, exec, s[4:5]
	s_waitcnt lgkmcnt(0)
	s_barrier
	s_and_saveexec_b64 s[4:5], vcc
	s_cbranch_execz .LBB0_19
; %bb.18:
	v_add_u32_e32 v44, 0xffffff78, v124
	v_cndmask_b32_e32 v44, v44, v124, vcc
	v_mul_i32_i24_e32 v44, 10, v44
	v_mov_b32_e32 v45, 0
	v_lshl_add_u64 v[44:45], v[44:45], 4, s[8:9]
	global_load_dwordx4 v[64:67], v[44:45], off offset:1968
	global_load_dwordx4 v[68:71], v[44:45], off offset:1984
	;; [unrolled: 1-line block ×10, first 2 shown]
	s_mov_b32 s24, 0xfd768dbf
	s_mov_b32 s28, 0xf8bb580b
	s_mov_b32 s25, 0xbfd207e7
	s_mov_b32 s26, 0x9bcd5057
	s_mov_b32 s22, 0xbb3a28a1
	s_mov_b32 s29, 0x3fe14ced
	s_mov_b32 s20, 0x8764f0ba
	s_mov_b32 s27, 0xbfeeb42a
	s_mov_b32 s23, 0xbfe82f19
	s_mov_b32 s18, 0x7f775887
	s_mov_b32 s21, 0x3feaeb8c
	s_mov_b32 s12, 0x43842ef
	s_mov_b32 s17, 0x3fed1bb4
	s_mov_b32 s16, 0x8eee2c13
	s_mov_b32 s14, 0xd9c712b6
	s_mov_b32 s19, 0xbfe4f49e
	s_mov_b32 s13, 0xbfefac9e
	s_mov_b32 s10, 0x640f44db
	s_mov_b32 s15, 0x3fda9628
	s_mov_b32 s11, 0xbfc2375f
	s_mov_b32 s35, 0x3fefac9e
	s_mov_b32 s34, s12
	s_mov_b32 s31, 0xbfe14ced
	s_mov_b32 s30, s28
	s_mov_b32 s37, 0x3fd207e7
	s_mov_b32 s36, s24
	s_waitcnt vmcnt(9)
	v_mul_f64 v[44:45], v[30:31], v[66:67]
	s_waitcnt vmcnt(8)
	v_mul_f64 v[46:47], v[38:39], v[70:71]
	v_mul_f64 v[66:67], v[28:29], v[66:67]
	;; [unrolled: 1-line block ×3, first 2 shown]
	s_waitcnt vmcnt(5)
	v_mul_f64 v[56:57], v[34:35], v[82:83]
	s_waitcnt vmcnt(4)
	v_mul_f64 v[52:53], v[6:7], v[86:87]
	;; [unrolled: 2-line block ×6, first 2 shown]
	v_mul_f64 v[90:91], v[20:21], v[90:91]
	v_mul_f64 v[98:99], v[16:17], v[98:99]
	v_fmac_f64_e32 v[62:63], v[16:17], v[96:97]
	v_fmac_f64_e32 v[58:59], v[0:1], v[100:101]
	v_mul_f64 v[0:1], v[0:1], v[102:103]
	v_mul_f64 v[86:87], v[4:5], v[86:87]
	v_mul_f64 v[94:95], v[8:9], v[94:95]
	v_fmac_f64_e32 v[44:45], v[28:29], v[64:65]
	v_fmac_f64_e32 v[46:47], v[36:37], v[68:69]
	v_fma_f64 v[28:29], v[30:31], v[64:65], -v[66:67]
	v_fma_f64 v[30:31], v[38:39], v[68:69], -v[70:71]
	v_fmac_f64_e32 v[60:61], v[20:21], v[88:89]
	v_fmac_f64_e32 v[54:55], v[8:9], v[92:93]
	v_fma_f64 v[22:23], v[22:23], v[88:89], -v[90:91]
	v_fma_f64 v[36:37], v[18:19], v[96:97], -v[98:99]
	v_add_f64 v[88:89], v[62:63], -v[58:59]
	v_fma_f64 v[38:39], v[2:3], v[100:101], -v[0:1]
	v_mul_f64 v[50:51], v[26:27], v[74:75]
	v_mul_f64 v[48:49], v[42:43], v[78:79]
	;; [unrolled: 1-line block ×3, first 2 shown]
	v_fmac_f64_e32 v[56:57], v[32:33], v[80:81]
	v_fmac_f64_e32 v[52:53], v[4:5], v[84:85]
	v_fma_f64 v[32:33], v[6:7], v[84:85], -v[86:87]
	v_fma_f64 v[20:21], v[10:11], v[92:93], -v[94:95]
	v_add_f64 v[86:87], v[60:61], -v[54:55]
	v_mul_f64 v[16:17], v[88:89], s[24:25]
	v_add_f64 v[68:69], v[36:37], v[38:39]
	v_mul_f64 v[74:75], v[24:25], v[74:75]
	v_mul_f64 v[78:79], v[40:41], v[78:79]
	v_fmac_f64_e32 v[50:51], v[24:25], v[72:73]
	v_fmac_f64_e32 v[48:49], v[40:41], v[76:77]
	v_fma_f64 v[34:35], v[34:35], v[80:81], -v[82:83]
	v_add_f64 v[84:85], v[56:57], -v[52:53]
	v_add_f64 v[66:67], v[22:23], v[20:21]
	v_mul_f64 v[10:11], v[86:87], s[28:29]
	v_fma_f64 v[0:1], s[26:27], v[68:69], v[16:17]
	v_fma_f64 v[16:17], v[68:69], s[26:27], -v[16:17]
	v_fma_f64 v[26:27], v[26:27], v[72:73], -v[74:75]
	;; [unrolled: 1-line block ×3, first 2 shown]
	v_add_f64 v[82:83], v[50:51], -v[48:49]
	v_add_f64 v[64:65], v[34:35], v[32:33]
	v_mul_f64 v[8:9], v[84:85], s[22:23]
	v_fma_f64 v[74:75], s[20:21], v[66:67], v[10:11]
	v_fma_f64 v[10:11], v[66:67], s[20:21], -v[10:11]
	v_add_f64 v[16:17], v[14:15], v[16:17]
	v_add_f64 v[80:81], v[44:45], -v[46:47]
	v_add_f64 v[42:43], v[26:27], v[24:25]
	v_mul_f64 v[6:7], v[82:83], s[16:17]
	v_fma_f64 v[72:73], s[18:19], v[64:65], v[8:9]
	v_add_f64 v[98:99], v[36:37], -v[38:39]
	v_fma_f64 v[8:9], v[64:65], s[18:19], -v[8:9]
	v_add_f64 v[10:11], v[10:11], v[16:17]
	v_add_f64 v[40:41], v[28:29], v[30:31]
	v_mul_f64 v[4:5], v[80:81], s[12:13]
	v_fma_f64 v[70:71], s[14:15], v[42:43], v[6:7]
	v_add_f64 v[0:1], v[14:15], v[0:1]
	v_add_f64 v[96:97], v[22:23], -v[20:21]
	v_add_f64 v[78:79], v[62:63], v[58:59]
	v_mul_f64 v[112:113], v[98:99], s[24:25]
	v_fma_f64 v[6:7], v[42:43], s[14:15], -v[6:7]
	v_add_f64 v[8:9], v[8:9], v[10:11]
	v_fma_f64 v[18:19], s[10:11], v[40:41], v[4:5]
	v_add_f64 v[0:1], v[74:75], v[0:1]
	v_add_f64 v[94:95], v[34:35], -v[32:33]
	v_add_f64 v[76:77], v[60:61], v[54:55]
	v_mul_f64 v[108:109], v[96:97], s[28:29]
	v_fma_f64 v[114:115], v[78:79], s[26:27], -v[112:113]
	v_fma_f64 v[4:5], v[40:41], s[10:11], -v[4:5]
	v_add_f64 v[6:7], v[6:7], v[8:9]
	v_fmac_f64_e32 v[112:113], s[26:27], v[78:79]
	v_add_f64 v[0:1], v[72:73], v[0:1]
	v_add_f64 v[92:93], v[26:27], -v[24:25]
	v_add_f64 v[74:75], v[56:57], v[52:53]
	v_mul_f64 v[104:105], v[94:95], s[22:23]
	v_fma_f64 v[110:111], v[76:77], s[20:21], -v[108:109]
	v_add_f64 v[114:115], v[12:13], v[114:115]
	v_add_f64 v[6:7], v[4:5], v[6:7]
	v_fmac_f64_e32 v[108:109], s[20:21], v[76:77]
	v_add_f64 v[4:5], v[12:13], v[112:113]
	v_add_f64 v[0:1], v[70:71], v[0:1]
	v_add_f64 v[90:91], v[28:29], -v[30:31]
	v_add_f64 v[72:73], v[50:51], v[48:49]
	v_mul_f64 v[100:101], v[92:93], s[16:17]
	v_fma_f64 v[106:107], v[74:75], s[18:19], -v[104:105]
	v_add_f64 v[110:111], v[110:111], v[114:115]
	v_fmac_f64_e32 v[104:105], s[18:19], v[74:75]
	v_add_f64 v[4:5], v[108:109], v[4:5]
	v_mul_f64 v[108:109], v[88:89], s[22:23]
	v_add_f64 v[2:3], v[18:19], v[0:1]
	v_add_f64 v[70:71], v[44:45], v[46:47]
	v_mul_f64 v[18:19], v[90:91], s[12:13]
	v_fma_f64 v[102:103], v[72:73], s[14:15], -v[100:101]
	v_add_f64 v[106:107], v[106:107], v[110:111]
	v_fmac_f64_e32 v[100:101], s[14:15], v[72:73]
	v_add_f64 v[4:5], v[104:105], v[4:5]
	v_mul_f64 v[104:105], v[86:87], s[34:35]
	v_fma_f64 v[110:111], s[18:19], v[68:69], v[108:109]
	v_fma_f64 v[108:109], v[68:69], s[18:19], -v[108:109]
	v_fma_f64 v[0:1], v[70:71], s[10:11], -v[18:19]
	v_add_f64 v[102:103], v[102:103], v[106:107]
	v_fmac_f64_e32 v[18:19], s[10:11], v[70:71]
	v_add_f64 v[4:5], v[100:101], v[4:5]
	v_mul_f64 v[100:101], v[84:85], s[30:31]
	v_fma_f64 v[106:107], s[10:11], v[66:67], v[104:105]
	v_fma_f64 v[104:105], v[66:67], s[10:11], -v[104:105]
	v_add_f64 v[108:109], v[14:15], v[108:109]
	v_add_f64 v[0:1], v[0:1], v[102:103]
	;; [unrolled: 1-line block ×3, first 2 shown]
	v_mul_f64 v[18:19], v[82:83], s[24:25]
	v_fma_f64 v[102:103], s[20:21], v[64:65], v[100:101]
	v_fma_f64 v[100:101], v[64:65], s[20:21], -v[100:101]
	v_add_f64 v[104:105], v[104:105], v[108:109]
	v_mul_f64 v[16:17], v[80:81], s[16:17]
	v_fma_f64 v[10:11], s[26:27], v[42:43], v[18:19]
	v_mul_f64 v[126:127], v[98:99], s[22:23]
	v_fma_f64 v[18:19], v[42:43], s[26:27], -v[18:19]
	v_add_f64 v[100:101], v[100:101], v[104:105]
	v_fma_f64 v[8:9], s[14:15], v[40:41], v[16:17]
	v_add_f64 v[110:111], v[14:15], v[110:111]
	v_mul_f64 v[116:117], v[96:97], s[34:35]
	v_fma_f64 v[128:129], v[78:79], s[18:19], -v[126:127]
	v_fma_f64 v[16:17], v[40:41], s[14:15], -v[16:17]
	v_add_f64 v[18:19], v[18:19], v[100:101]
	v_fmac_f64_e32 v[126:127], s[18:19], v[78:79]
	v_add_f64 v[106:107], v[106:107], v[110:111]
	v_mul_f64 v[112:113], v[94:95], s[30:31]
	v_fma_f64 v[118:119], v[76:77], s[10:11], -v[116:117]
	v_add_f64 v[128:129], v[12:13], v[128:129]
	v_add_f64 v[18:19], v[16:17], v[18:19]
	v_fmac_f64_e32 v[116:117], s[10:11], v[76:77]
	v_add_f64 v[16:17], v[12:13], v[126:127]
	v_add_f64 v[102:103], v[102:103], v[106:107]
	v_mul_f64 v[106:107], v[92:93], s[24:25]
	v_fma_f64 v[114:115], v[74:75], s[20:21], -v[112:113]
	v_add_f64 v[118:119], v[118:119], v[128:129]
	v_fmac_f64_e32 v[112:113], s[20:21], v[74:75]
	v_add_f64 v[16:17], v[116:117], v[16:17]
	v_mul_f64 v[116:117], v[88:89], s[12:13]
	v_add_f64 v[10:11], v[10:11], v[102:103]
	v_mul_f64 v[102:103], v[90:91], s[16:17]
	v_fma_f64 v[110:111], v[72:73], s[26:27], -v[106:107]
	v_add_f64 v[114:115], v[114:115], v[118:119]
	v_add_f64 v[16:17], v[112:113], v[16:17]
	v_mul_f64 v[112:113], v[86:87], s[36:37]
	v_fma_f64 v[118:119], s[10:11], v[68:69], v[116:117]
	v_fma_f64 v[116:117], v[68:69], s[10:11], -v[116:117]
	v_add_f64 v[10:11], v[8:9], v[10:11]
	v_fma_f64 v[8:9], v[70:71], s[14:15], -v[102:103]
	v_add_f64 v[110:111], v[110:111], v[114:115]
	v_fmac_f64_e32 v[106:107], s[26:27], v[72:73]
	v_mul_f64 v[108:109], v[84:85], s[16:17]
	v_fma_f64 v[114:115], s[26:27], v[66:67], v[112:113]
	v_fma_f64 v[112:113], v[66:67], s[26:27], -v[112:113]
	v_add_f64 v[116:117], v[14:15], v[116:117]
	v_add_f64 v[8:9], v[8:9], v[110:111]
	v_fmac_f64_e32 v[102:103], s[14:15], v[70:71]
	v_add_f64 v[16:17], v[106:107], v[16:17]
	v_mul_f64 v[106:107], v[82:83], s[30:31]
	v_fma_f64 v[110:111], s[14:15], v[64:65], v[108:109]
	v_fma_f64 v[108:109], v[64:65], s[14:15], -v[108:109]
	v_add_f64 v[112:113], v[112:113], v[116:117]
	v_add_f64 v[16:17], v[102:103], v[16:17]
	v_mul_f64 v[104:105], v[80:81], s[22:23]
	v_fma_f64 v[102:103], s[20:21], v[42:43], v[106:107]
	v_mul_f64 v[134:135], v[98:99], s[12:13]
	v_fma_f64 v[106:107], v[42:43], s[20:21], -v[106:107]
	v_add_f64 v[108:109], v[108:109], v[112:113]
	v_fma_f64 v[100:101], s[18:19], v[40:41], v[104:105]
	v_add_f64 v[118:119], v[14:15], v[118:119]
	v_mul_f64 v[130:131], v[96:97], s[36:37]
	v_fma_f64 v[136:137], v[78:79], s[10:11], -v[134:135]
	v_fma_f64 v[104:105], v[40:41], s[18:19], -v[104:105]
	v_add_f64 v[106:107], v[106:107], v[108:109]
	v_fmac_f64_e32 v[134:135], s[10:11], v[78:79]
	v_add_f64 v[114:115], v[114:115], v[118:119]
	v_mul_f64 v[126:127], v[94:95], s[16:17]
	v_fma_f64 v[132:133], v[76:77], s[26:27], -v[130:131]
	v_add_f64 v[136:137], v[12:13], v[136:137]
	v_add_f64 v[106:107], v[104:105], v[106:107]
	v_fmac_f64_e32 v[130:131], s[26:27], v[76:77]
	v_add_f64 v[104:105], v[12:13], v[134:135]
	s_mov_b32 s17, 0xbfed1bb4
	v_add_f64 v[110:111], v[110:111], v[114:115]
	v_mul_f64 v[114:115], v[92:93], s[30:31]
	v_fma_f64 v[128:129], v[74:75], s[14:15], -v[126:127]
	v_add_f64 v[132:133], v[132:133], v[136:137]
	v_fmac_f64_e32 v[126:127], s[14:15], v[74:75]
	v_add_f64 v[104:105], v[130:131], v[104:105]
	v_mul_f64 v[130:131], v[88:89], s[16:17]
	v_add_f64 v[102:103], v[102:103], v[110:111]
	v_mul_f64 v[110:111], v[90:91], s[22:23]
	v_fma_f64 v[118:119], v[72:73], s[20:21], -v[114:115]
	v_add_f64 v[128:129], v[128:129], v[132:133]
	v_add_f64 v[104:105], v[126:127], v[104:105]
	v_mul_f64 v[126:127], v[86:87], s[22:23]
	v_fma_f64 v[132:133], s[14:15], v[68:69], v[130:131]
	v_fma_f64 v[130:131], v[68:69], s[14:15], -v[130:131]
	v_add_f64 v[102:103], v[100:101], v[102:103]
	v_fma_f64 v[100:101], v[70:71], s[18:19], -v[110:111]
	v_add_f64 v[118:119], v[118:119], v[128:129]
	v_fmac_f64_e32 v[114:115], s[20:21], v[72:73]
	v_mul_f64 v[116:117], v[84:85], s[36:37]
	v_fma_f64 v[128:129], s[18:19], v[66:67], v[126:127]
	v_fma_f64 v[126:127], v[66:67], s[18:19], -v[126:127]
	v_add_f64 v[130:131], v[14:15], v[130:131]
	v_add_f64 v[100:101], v[100:101], v[118:119]
	v_fmac_f64_e32 v[110:111], s[18:19], v[70:71]
	v_add_f64 v[104:105], v[114:115], v[104:105]
	v_mul_f64 v[114:115], v[82:83], s[34:35]
	v_fma_f64 v[118:119], s[26:27], v[64:65], v[116:117]
	v_fma_f64 v[116:117], v[64:65], s[26:27], -v[116:117]
	v_add_f64 v[126:127], v[126:127], v[130:131]
	v_add_f64 v[104:105], v[110:111], v[104:105]
	v_mul_f64 v[112:113], v[80:81], s[28:29]
	v_fma_f64 v[110:111], s[10:11], v[42:43], v[114:115]
	v_mul_f64 v[142:143], v[98:99], s[16:17]
	v_fma_f64 v[114:115], v[42:43], s[10:11], -v[114:115]
	v_add_f64 v[116:117], v[116:117], v[126:127]
	v_fma_f64 v[108:109], s[20:21], v[40:41], v[112:113]
	v_add_f64 v[132:133], v[14:15], v[132:133]
	v_mul_f64 v[138:139], v[96:97], s[22:23]
	v_fma_f64 v[144:145], v[78:79], s[14:15], -v[142:143]
	v_fma_f64 v[112:113], v[40:41], s[20:21], -v[112:113]
	v_add_f64 v[114:115], v[114:115], v[116:117]
	v_fmac_f64_e32 v[142:143], s[14:15], v[78:79]
	v_add_f64 v[128:129], v[128:129], v[132:133]
	v_mul_f64 v[134:135], v[94:95], s[36:37]
	v_fma_f64 v[140:141], v[76:77], s[18:19], -v[138:139]
	v_add_f64 v[114:115], v[112:113], v[114:115]
	v_fmac_f64_e32 v[138:139], s[18:19], v[76:77]
	v_add_f64 v[112:113], v[12:13], v[142:143]
	v_add_f64 v[118:119], v[118:119], v[128:129]
	v_mul_f64 v[128:129], v[92:93], s[34:35]
	v_fma_f64 v[136:137], v[74:75], s[26:27], -v[134:135]
	v_fmac_f64_e32 v[134:135], s[26:27], v[74:75]
	v_add_f64 v[112:113], v[138:139], v[112:113]
	v_mul_f64 v[88:89], v[88:89], s[30:31]
	v_add_f64 v[110:111], v[110:111], v[118:119]
	v_mul_f64 v[118:119], v[90:91], s[28:29]
	v_fma_f64 v[132:133], v[72:73], s[10:11], -v[128:129]
	v_add_f64 v[144:145], v[12:13], v[144:145]
	v_fmac_f64_e32 v[128:129], s[10:11], v[72:73]
	v_add_f64 v[112:113], v[134:135], v[112:113]
	v_mul_f64 v[86:87], v[86:87], s[16:17]
	v_fma_f64 v[130:131], s[20:21], v[68:69], v[88:89]
	v_fma_f64 v[68:69], v[68:69], s[20:21], -v[88:89]
	v_add_f64 v[110:111], v[108:109], v[110:111]
	v_fma_f64 v[108:109], v[70:71], s[20:21], -v[118:119]
	v_add_f64 v[140:141], v[140:141], v[144:145]
	v_fmac_f64_e32 v[118:119], s[20:21], v[70:71]
	v_add_f64 v[112:113], v[128:129], v[112:113]
	v_mul_f64 v[84:85], v[84:85], s[12:13]
	v_fma_f64 v[128:129], s[14:15], v[66:67], v[86:87]
	v_fma_f64 v[66:67], v[66:67], s[14:15], -v[86:87]
	v_add_f64 v[68:69], v[14:15], v[68:69]
	v_add_f64 v[136:137], v[136:137], v[140:141]
	v_add_f64 v[112:113], v[118:119], v[112:113]
	v_mul_f64 v[118:119], v[82:83], s[22:23]
	v_fma_f64 v[126:127], s[10:11], v[64:65], v[84:85]
	v_fma_f64 v[64:65], v[64:65], s[10:11], -v[84:85]
	v_add_f64 v[66:67], v[66:67], v[68:69]
	v_add_f64 v[132:133], v[132:133], v[136:137]
	v_mul_f64 v[116:117], v[80:81], s[24:25]
	v_fma_f64 v[82:83], s[18:19], v[42:43], v[118:119]
	v_mul_f64 v[98:99], v[98:99], s[30:31]
	v_fma_f64 v[42:43], v[42:43], s[18:19], -v[118:119]
	v_add_f64 v[64:65], v[64:65], v[66:67]
	v_add_f64 v[108:109], v[108:109], v[132:133]
	v_fma_f64 v[80:81], s[26:27], v[40:41], v[116:117]
	v_fma_f64 v[132:133], v[78:79], s[20:21], -v[98:99]
	v_fma_f64 v[40:41], v[40:41], s[26:27], -v[116:117]
	v_add_f64 v[42:43], v[42:43], v[64:65]
	v_fmac_f64_e32 v[98:99], s[20:21], v[78:79]
	v_add_f64 v[130:131], v[14:15], v[130:131]
	v_add_f64 v[132:133], v[12:13], v[132:133]
	;; [unrolled: 1-line block ×14, first 2 shown]
	v_mul_f64 v[96:97], v[96:97], s[16:17]
	v_add_f64 v[14:15], v[14:15], v[30:31]
	v_add_f64 v[12:13], v[12:13], v[46:47]
	;; [unrolled: 1-line block ×3, first 2 shown]
	v_mul_f64 v[94:95], v[94:95], s[12:13]
	v_fma_f64 v[130:131], v[76:77], s[14:15], -v[96:97]
	v_fmac_f64_e32 v[96:97], s[14:15], v[76:77]
	v_add_f64 v[14:15], v[14:15], v[24:25]
	v_add_f64 v[12:13], v[12:13], v[48:49]
	;; [unrolled: 1-line block ×3, first 2 shown]
	v_mul_f64 v[92:93], v[92:93], s[22:23]
	v_fma_f64 v[128:129], v[74:75], s[10:11], -v[94:95]
	v_add_f64 v[130:131], v[130:131], v[132:133]
	v_fmac_f64_e32 v[94:95], s[10:11], v[74:75]
	v_add_f64 v[40:41], v[96:97], v[40:41]
	v_add_f64 v[14:15], v[14:15], v[32:33]
	;; [unrolled: 1-line block ×4, first 2 shown]
	v_mul_f64 v[90:91], v[90:91], s[24:25]
	v_fma_f64 v[126:127], v[72:73], s[18:19], -v[92:93]
	v_add_f64 v[128:129], v[128:129], v[130:131]
	v_fmac_f64_e32 v[92:93], s[18:19], v[72:73]
	v_add_f64 v[40:41], v[94:95], v[40:41]
	v_add_f64 v[14:15], v[14:15], v[20:21]
	;; [unrolled: 1-line block ×4, first 2 shown]
	v_fma_f64 v[80:81], v[70:71], s[26:27], -v[90:91]
	v_add_f64 v[126:127], v[126:127], v[128:129]
	v_fmac_f64_e32 v[90:91], s[26:27], v[70:71]
	v_add_f64 v[40:41], v[92:93], v[40:41]
	v_add_f64 v[14:15], v[14:15], v[38:39]
	v_add_f64 v[12:13], v[12:13], v[58:59]
	v_add_f64 v[80:81], v[80:81], v[126:127]
	v_add_f64 v[40:41], v[90:91], v[40:41]
	ds_write_b128 v190, v[12:15]
	ds_write_b128 v190, v[40:43] offset:2176
	ds_write_b128 v190, v[112:115] offset:4352
	;; [unrolled: 1-line block ×10, first 2 shown]
.LBB0_19:
	s_or_b64 exec, exec, s[4:5]
	s_waitcnt lgkmcnt(0)
	s_barrier
	ds_read_b128 v[4:7], v190
	s_add_u32 s4, s8, 0x5c70
	v_lshlrev_b32_e32 v0, 4, v124
	s_addc_u32 s5, s9, 0
	v_sub_u32_e32 v14, 0, v0
	v_cmp_ne_u32_e32 vcc, 0, v124
                                        ; implicit-def: $vgpr0_vgpr1
                                        ; implicit-def: $vgpr8_vgpr9
                                        ; implicit-def: $vgpr10_vgpr11
                                        ; implicit-def: $vgpr12_vgpr13
	s_and_saveexec_b64 s[8:9], vcc
	s_xor_b64 s[8:9], exec, s[8:9]
	s_cbranch_execz .LBB0_21
; %bb.20:
	v_mov_b32_e32 v125, 0
	v_lshl_add_u64 v[0:1], v[124:125], 4, s[4:5]
	global_load_dwordx4 v[0:3], v[0:1], off
	ds_read_b128 v[8:11], v14 offset:23936
	s_waitcnt lgkmcnt(0)
	v_add_f64 v[12:13], v[4:5], v[8:9]
	v_add_f64 v[4:5], v[4:5], -v[8:9]
	v_add_f64 v[16:17], v[6:7], v[10:11]
	v_add_f64 v[6:7], v[6:7], -v[10:11]
	v_mul_f64 v[4:5], v[4:5], 0.5
	v_mul_f64 v[16:17], v[16:17], 0.5
	;; [unrolled: 1-line block ×3, first 2 shown]
	s_waitcnt vmcnt(0)
	v_mul_f64 v[18:19], v[4:5], v[2:3]
	v_fma_f64 v[10:11], v[16:17], v[2:3], v[6:7]
	v_fma_f64 v[2:3], v[16:17], v[2:3], -v[6:7]
	v_fma_f64 v[8:9], 0.5, v[12:13], v[18:19]
	v_fma_f64 v[6:7], v[12:13], 0.5, -v[18:19]
	v_fma_f64 v[10:11], -v[0:1], v[4:5], v[10:11]
	v_fma_f64 v[2:3], -v[0:1], v[4:5], v[2:3]
	v_fmac_f64_e32 v[8:9], v[16:17], v[0:1]
	v_fma_f64 v[0:1], -v[16:17], v[0:1], v[6:7]
	v_mov_b64_e32 v[12:13], v[124:125]
                                        ; implicit-def: $vgpr4_vgpr5
.LBB0_21:
	s_andn2_saveexec_b64 s[8:9], s[8:9]
	s_cbranch_execz .LBB0_23
; %bb.22:
	v_mov_b32_e32 v15, 0
	ds_read_b64 v[2:3], v15 offset:11976
	v_mov_b64_e32 v[10:11], 0
	s_waitcnt lgkmcnt(1)
	v_add_f64 v[8:9], v[4:5], v[6:7]
	v_add_f64 v[0:1], v[4:5], -v[6:7]
	v_mov_b64_e32 v[12:13], 0
	s_waitcnt lgkmcnt(0)
	v_xor_b32_e32 v3, 0x80000000, v3
	ds_write_b64 v15, v[2:3] offset:11976
	v_mov_b64_e32 v[2:3], v[10:11]
.LBB0_23:
	s_or_b64 exec, exec, s[8:9]
	v_lshl_add_u64 v[12:13], v[12:13], 4, s[4:5]
	s_waitcnt lgkmcnt(0)
	global_load_dwordx4 v[4:7], v[12:13], off offset:2992
	s_movk_i32 s4, 0x1000
	v_add_co_u32_e32 v16, vcc, s4, v12
	s_movk_i32 s4, 0x2000
	s_nop 0
	v_addc_co_u32_e32 v17, vcc, 0, v13, vcc
	global_load_dwordx4 v[16:19], v[16:17], off offset:1888
	v_add_co_u32_e32 v12, vcc, s4, v12
	v_add_u32_e32 v15, 0x800, v190
	s_nop 0
	v_addc_co_u32_e32 v13, vcc, 0, v13, vcc
	global_load_dwordx4 v[20:23], v[12:13], off offset:784
	ds_write2_b64 v190, v[8:9], v[10:11] offset1:1
	ds_write_b128 v14, v[0:3] offset:23936
	ds_read_b128 v[0:3], v190 offset:2992
	ds_read_b128 v[8:11], v14 offset:20944
	s_waitcnt lgkmcnt(0)
	v_add_f64 v[12:13], v[0:1], v[8:9]
	v_add_f64 v[0:1], v[0:1], -v[8:9]
	v_add_f64 v[24:25], v[2:3], v[10:11]
	v_add_f64 v[2:3], v[2:3], -v[10:11]
	v_mul_f64 v[0:1], v[0:1], 0.5
	v_mul_f64 v[8:9], v[24:25], 0.5
	;; [unrolled: 1-line block ×3, first 2 shown]
	s_waitcnt vmcnt(2)
	v_mul_f64 v[10:11], v[0:1], v[6:7]
	v_fma_f64 v[24:25], v[8:9], v[6:7], v[2:3]
	v_fma_f64 v[2:3], v[8:9], v[6:7], -v[2:3]
	v_fma_f64 v[6:7], 0.5, v[12:13], v[10:11]
	v_fma_f64 v[24:25], -v[4:5], v[0:1], v[24:25]
	v_fma_f64 v[10:11], v[12:13], 0.5, -v[10:11]
	v_fmac_f64_e32 v[6:7], v[8:9], v[4:5]
	v_fma_f64 v[2:3], -v[4:5], v[0:1], v[2:3]
	v_fma_f64 v[0:1], -v[8:9], v[4:5], v[10:11]
	ds_write2_b64 v15, v[6:7], v[24:25] offset0:118 offset1:119
	ds_write_b128 v14, v[0:3] offset:20944
	ds_read_b128 v[0:3], v190 offset:5984
	ds_read_b128 v[4:7], v14 offset:17952
	v_add_u32_e32 v15, 0x1000, v190
	s_waitcnt lgkmcnt(0)
	v_add_f64 v[8:9], v[0:1], v[4:5]
	v_add_f64 v[0:1], v[0:1], -v[4:5]
	v_add_f64 v[10:11], v[2:3], v[6:7]
	v_add_f64 v[2:3], v[2:3], -v[6:7]
	v_mul_f64 v[0:1], v[0:1], 0.5
	v_mul_f64 v[4:5], v[10:11], 0.5
	;; [unrolled: 1-line block ×3, first 2 shown]
	s_waitcnt vmcnt(1)
	v_mul_f64 v[6:7], v[0:1], v[18:19]
	v_fma_f64 v[10:11], v[4:5], v[18:19], v[2:3]
	v_fma_f64 v[12:13], 0.5, v[8:9], v[6:7]
	v_fma_f64 v[2:3], v[4:5], v[18:19], -v[2:3]
	v_fma_f64 v[10:11], -v[16:17], v[0:1], v[10:11]
	v_fma_f64 v[6:7], v[8:9], 0.5, -v[6:7]
	v_fmac_f64_e32 v[12:13], v[4:5], v[16:17]
	v_fma_f64 v[2:3], -v[16:17], v[0:1], v[2:3]
	v_fma_f64 v[0:1], -v[4:5], v[16:17], v[6:7]
	ds_write2_b64 v15, v[12:13], v[10:11] offset0:236 offset1:237
	ds_write_b128 v14, v[0:3] offset:17952
	ds_read_b128 v[0:3], v190 offset:8976
	ds_read_b128 v[4:7], v14 offset:14960
	v_add_u32_e32 v15, 0x2000, v190
	s_waitcnt lgkmcnt(0)
	v_add_f64 v[8:9], v[0:1], v[4:5]
	v_add_f64 v[0:1], v[0:1], -v[4:5]
	v_add_f64 v[10:11], v[2:3], v[6:7]
	v_add_f64 v[2:3], v[2:3], -v[6:7]
	v_mul_f64 v[0:1], v[0:1], 0.5
	v_mul_f64 v[4:5], v[10:11], 0.5
	;; [unrolled: 1-line block ×3, first 2 shown]
	s_waitcnt vmcnt(0)
	v_mul_f64 v[6:7], v[0:1], v[22:23]
	v_fma_f64 v[10:11], v[4:5], v[22:23], v[2:3]
	v_fma_f64 v[12:13], 0.5, v[8:9], v[6:7]
	v_fma_f64 v[2:3], v[4:5], v[22:23], -v[2:3]
	v_fma_f64 v[10:11], -v[20:21], v[0:1], v[10:11]
	v_fma_f64 v[6:7], v[8:9], 0.5, -v[6:7]
	v_fmac_f64_e32 v[12:13], v[4:5], v[20:21]
	v_fma_f64 v[2:3], -v[20:21], v[0:1], v[2:3]
	v_fma_f64 v[0:1], -v[4:5], v[20:21], v[6:7]
	ds_write2_b64 v15, v[12:13], v[10:11] offset0:98 offset1:99
	ds_write_b128 v14, v[0:3] offset:14960
	s_waitcnt lgkmcnt(0)
	s_barrier
	s_and_saveexec_b64 s[4:5], s[0:1]
	s_cbranch_execz .LBB0_26
; %bb.24:
	v_mul_lo_u32 v2, s3, v122
	v_mul_lo_u32 v3, s2, v123
	v_mad_u64_u32 v[0:1], s[0:1], s2, v122, 0
	v_lshl_add_u32 v12, v124, 4, 0
	v_add3_u32 v1, v1, v3, v2
	ds_read_b128 v[2:5], v12
	ds_read_b128 v[6:9], v12 offset:2992
	v_lshl_add_u64 v[0:1], v[0:1], 4, s[6:7]
	v_mov_b32_e32 v125, 0
	v_lshl_add_u64 v[0:1], v[120:121], 4, v[0:1]
	v_lshl_add_u64 v[10:11], v[124:125], 4, v[0:1]
	s_waitcnt lgkmcnt(1)
	global_store_dwordx4 v[10:11], v[2:5], off
	s_movk_i32 s0, 0xba
	v_cmp_eq_u32_e32 vcc, s0, v124
	v_add_u32_e32 v2, 0xbb, v124
	v_mov_b32_e32 v3, v125
	v_lshl_add_u64 v[2:3], v[2:3], 4, v[0:1]
	s_waitcnt lgkmcnt(0)
	global_store_dwordx4 v[2:3], v[6:9], off
	ds_read_b128 v[2:5], v12 offset:5984
	s_nop 0
	v_add_u32_e32 v6, 0x176, v124
	v_mov_b32_e32 v7, v125
	v_lshl_add_u64 v[10:11], v[6:7], 4, v[0:1]
	ds_read_b128 v[6:9], v12 offset:8976
	s_waitcnt lgkmcnt(1)
	global_store_dwordx4 v[10:11], v[2:5], off
	s_nop 1
	v_add_u32_e32 v2, 0x231, v124
	v_mov_b32_e32 v3, v125
	v_lshl_add_u64 v[2:3], v[2:3], 4, v[0:1]
	s_waitcnt lgkmcnt(0)
	global_store_dwordx4 v[2:3], v[6:9], off
	ds_read_b128 v[2:5], v12 offset:11968
	s_nop 0
	v_add_u32_e32 v6, 0x2ec, v124
	v_mov_b32_e32 v7, v125
	v_lshl_add_u64 v[10:11], v[6:7], 4, v[0:1]
	ds_read_b128 v[6:9], v12 offset:14960
	s_waitcnt lgkmcnt(1)
	global_store_dwordx4 v[10:11], v[2:5], off
	s_nop 1
	v_add_u32_e32 v2, 0x3a7, v124
	v_mov_b32_e32 v3, v125
	v_lshl_add_u64 v[2:3], v[2:3], 4, v[0:1]
	s_waitcnt lgkmcnt(0)
	global_store_dwordx4 v[2:3], v[6:9], off
	ds_read_b128 v[2:5], v12 offset:17952
	s_nop 0
	v_add_u32_e32 v6, 0x462, v124
	v_mov_b32_e32 v7, v125
	v_lshl_add_u64 v[10:11], v[6:7], 4, v[0:1]
	ds_read_b128 v[6:9], v12 offset:20944
	s_waitcnt lgkmcnt(1)
	global_store_dwordx4 v[10:11], v[2:5], off
	s_nop 1
	v_add_u32_e32 v2, 0x51d, v124
	v_mov_b32_e32 v3, v125
	v_lshl_add_u64 v[2:3], v[2:3], 4, v[0:1]
	s_waitcnt lgkmcnt(0)
	global_store_dwordx4 v[2:3], v[6:9], off
	s_and_b64 exec, exec, vcc
	s_cbranch_execz .LBB0_26
; %bb.25:
	ds_read_b128 v[2:5], v125 offset:23936
	v_add_co_u32_e32 v0, vcc, 0x5000, v0
	s_nop 1
	v_addc_co_u32_e32 v1, vcc, 0, v1, vcc
	s_waitcnt lgkmcnt(0)
	global_store_dwordx4 v[0:1], v[2:5], off offset:3456
.LBB0_26:
	s_endpgm
	.section	.rodata,"a",@progbits
	.p2align	6, 0x0
	.amdhsa_kernel fft_rtc_back_len1496_factors_17_8_11_wgs_187_tpt_187_halfLds_dp_op_CI_CI_unitstride_sbrr_R2C_dirReg
		.amdhsa_group_segment_fixed_size 0
		.amdhsa_private_segment_fixed_size 0
		.amdhsa_kernarg_size 104
		.amdhsa_user_sgpr_count 2
		.amdhsa_user_sgpr_dispatch_ptr 0
		.amdhsa_user_sgpr_queue_ptr 0
		.amdhsa_user_sgpr_kernarg_segment_ptr 1
		.amdhsa_user_sgpr_dispatch_id 0
		.amdhsa_user_sgpr_kernarg_preload_length 0
		.amdhsa_user_sgpr_kernarg_preload_offset 0
		.amdhsa_user_sgpr_private_segment_size 0
		.amdhsa_uses_dynamic_stack 0
		.amdhsa_enable_private_segment 0
		.amdhsa_system_sgpr_workgroup_id_x 1
		.amdhsa_system_sgpr_workgroup_id_y 0
		.amdhsa_system_sgpr_workgroup_id_z 0
		.amdhsa_system_sgpr_workgroup_info 0
		.amdhsa_system_vgpr_workitem_id 0
		.amdhsa_next_free_vgpr 238
		.amdhsa_next_free_sgpr 60
		.amdhsa_accum_offset 240
		.amdhsa_reserve_vcc 1
		.amdhsa_float_round_mode_32 0
		.amdhsa_float_round_mode_16_64 0
		.amdhsa_float_denorm_mode_32 3
		.amdhsa_float_denorm_mode_16_64 3
		.amdhsa_dx10_clamp 1
		.amdhsa_ieee_mode 1
		.amdhsa_fp16_overflow 0
		.amdhsa_tg_split 0
		.amdhsa_exception_fp_ieee_invalid_op 0
		.amdhsa_exception_fp_denorm_src 0
		.amdhsa_exception_fp_ieee_div_zero 0
		.amdhsa_exception_fp_ieee_overflow 0
		.amdhsa_exception_fp_ieee_underflow 0
		.amdhsa_exception_fp_ieee_inexact 0
		.amdhsa_exception_int_div_zero 0
	.end_amdhsa_kernel
	.text
.Lfunc_end0:
	.size	fft_rtc_back_len1496_factors_17_8_11_wgs_187_tpt_187_halfLds_dp_op_CI_CI_unitstride_sbrr_R2C_dirReg, .Lfunc_end0-fft_rtc_back_len1496_factors_17_8_11_wgs_187_tpt_187_halfLds_dp_op_CI_CI_unitstride_sbrr_R2C_dirReg
                                        ; -- End function
	.section	.AMDGPU.csdata,"",@progbits
; Kernel info:
; codeLenInByte = 13172
; NumSgprs: 66
; NumVgprs: 238
; NumAgprs: 0
; TotalNumVgprs: 238
; ScratchSize: 0
; MemoryBound: 0
; FloatMode: 240
; IeeeMode: 1
; LDSByteSize: 0 bytes/workgroup (compile time only)
; SGPRBlocks: 8
; VGPRBlocks: 29
; NumSGPRsForWavesPerEU: 66
; NumVGPRsForWavesPerEU: 238
; AccumOffset: 240
; Occupancy: 2
; WaveLimiterHint : 1
; COMPUTE_PGM_RSRC2:SCRATCH_EN: 0
; COMPUTE_PGM_RSRC2:USER_SGPR: 2
; COMPUTE_PGM_RSRC2:TRAP_HANDLER: 0
; COMPUTE_PGM_RSRC2:TGID_X_EN: 1
; COMPUTE_PGM_RSRC2:TGID_Y_EN: 0
; COMPUTE_PGM_RSRC2:TGID_Z_EN: 0
; COMPUTE_PGM_RSRC2:TIDIG_COMP_CNT: 0
; COMPUTE_PGM_RSRC3_GFX90A:ACCUM_OFFSET: 59
; COMPUTE_PGM_RSRC3_GFX90A:TG_SPLIT: 0
	.text
	.p2alignl 6, 3212836864
	.fill 256, 4, 3212836864
	.type	__hip_cuid_74465896a57c7074,@object ; @__hip_cuid_74465896a57c7074
	.section	.bss,"aw",@nobits
	.globl	__hip_cuid_74465896a57c7074
__hip_cuid_74465896a57c7074:
	.byte	0                               ; 0x0
	.size	__hip_cuid_74465896a57c7074, 1

	.ident	"AMD clang version 19.0.0git (https://github.com/RadeonOpenCompute/llvm-project roc-6.4.0 25133 c7fe45cf4b819c5991fe208aaa96edf142730f1d)"
	.section	".note.GNU-stack","",@progbits
	.addrsig
	.addrsig_sym __hip_cuid_74465896a57c7074
	.amdgpu_metadata
---
amdhsa.kernels:
  - .agpr_count:     0
    .args:
      - .actual_access:  read_only
        .address_space:  global
        .offset:         0
        .size:           8
        .value_kind:     global_buffer
      - .offset:         8
        .size:           8
        .value_kind:     by_value
      - .actual_access:  read_only
        .address_space:  global
        .offset:         16
        .size:           8
        .value_kind:     global_buffer
      - .actual_access:  read_only
        .address_space:  global
        .offset:         24
        .size:           8
        .value_kind:     global_buffer
      - .actual_access:  read_only
        .address_space:  global
        .offset:         32
        .size:           8
        .value_kind:     global_buffer
      - .offset:         40
        .size:           8
        .value_kind:     by_value
      - .actual_access:  read_only
        .address_space:  global
        .offset:         48
        .size:           8
        .value_kind:     global_buffer
      - .actual_access:  read_only
        .address_space:  global
        .offset:         56
        .size:           8
        .value_kind:     global_buffer
      - .offset:         64
        .size:           4
        .value_kind:     by_value
      - .actual_access:  read_only
        .address_space:  global
        .offset:         72
        .size:           8
        .value_kind:     global_buffer
      - .actual_access:  read_only
        .address_space:  global
        .offset:         80
        .size:           8
        .value_kind:     global_buffer
      - .actual_access:  read_only
        .address_space:  global
        .offset:         88
        .size:           8
        .value_kind:     global_buffer
      - .actual_access:  write_only
        .address_space:  global
        .offset:         96
        .size:           8
        .value_kind:     global_buffer
    .group_segment_fixed_size: 0
    .kernarg_segment_align: 8
    .kernarg_segment_size: 104
    .language:       OpenCL C
    .language_version:
      - 2
      - 0
    .max_flat_workgroup_size: 187
    .name:           fft_rtc_back_len1496_factors_17_8_11_wgs_187_tpt_187_halfLds_dp_op_CI_CI_unitstride_sbrr_R2C_dirReg
    .private_segment_fixed_size: 0
    .sgpr_count:     66
    .sgpr_spill_count: 0
    .symbol:         fft_rtc_back_len1496_factors_17_8_11_wgs_187_tpt_187_halfLds_dp_op_CI_CI_unitstride_sbrr_R2C_dirReg.kd
    .uniform_work_group_size: 1
    .uses_dynamic_stack: false
    .vgpr_count:     238
    .vgpr_spill_count: 0
    .wavefront_size: 64
amdhsa.target:   amdgcn-amd-amdhsa--gfx950
amdhsa.version:
  - 1
  - 2
...

	.end_amdgpu_metadata
